;; amdgpu-corpus repo=ROCm/aiter kind=harvested arch=n/a opt=n/a

/root/src/amdgpu-assembly/repos/ROCm__aiter/hsa/gfx942/fmoe_2stages/fmoe_stage1_bf16_pertokenFp8_blockscale_g1u1_32x512_pf3.co:	file format elf64-amdgpu

Disassembly of section .text:

0000000000002a00 <_ZN5aiter55fmoe_stage1_bf16_pertokenFp8_blockscale_g1u1_32x512_pf3E>:
	s_and_b32 s1, s1, 0xffff                                   // 000000002A00: 8601FF01 0000FFFF
	s_load_dwordx2 s[8:9], s[0:1], 0x0                         // 000000002A08: C0060200 00000000
	s_load_dwordx2 s[20:21], s[0:1], 0x10                      // 000000002A10: C0060500 00000010
	s_load_dwordx2 s[24:25], s[0:1], 0x20                      // 000000002A18: C0060600 00000020
	s_load_dwordx2 s[48:49], s[0:1], 0x30                      // 000000002A20: C0060C00 00000030
	s_load_dwordx2 s[28:29], s[0:1], 0x40                      // 000000002A28: C0060700 00000040
	s_load_dwordx2 s[32:33], s[0:1], 0x50                      // 000000002A30: C0060800 00000050
	s_load_dwordx2 s[36:37], s[0:1], 0x60                      // 000000002A38: C0060900 00000060
	s_load_dwordx2 s[12:13], s[0:1], 0x70                      // 000000002A40: C0060300 00000070
	s_load_dwordx2 s[44:45], s[0:1], 0x80                      // 000000002A48: C0060B00 00000080
	s_mov_b32 s89, 0                                           // 000000002A50: BED90080
	s_load_dword s64, s[0:1], 0x90                             // 000000002A54: C0021000 00000090
	s_load_dword s65, s[0:1], 0xa0                             // 000000002A5C: C0021040 000000A0
	s_load_dword s66, s[0:1], 0xb0                             // 000000002A64: C0021080 000000B0
	s_load_dword s67, s[0:1], 0xc0                             // 000000002A6C: C00210C0 000000C0
	s_load_dword s68, s[0:1], 0xd0                             // 000000002A74: C0021100 000000D0
	s_load_dword s69, s[0:1], 0xe0                             // 000000002A7C: C0021140 000000E0
	s_load_dword s71, s[0:1], 0xf0                             // 000000002A84: C00211C0 000000F0
	s_load_dword s72, s[0:1], 0x100                            // 000000002A8C: C0021200 00000100
	s_load_dword s74, s[0:1], 0x110                            // 000000002A94: C0021280 00000110
	s_load_dword s76, s[0:1], 0x120                            // 000000002A9C: C0021300 00000120
	s_load_dword s56, s[0:1], 0x130                            // 000000002AA4: C0020E00 00000130
	s_load_dword s88, s[0:1], 0x140                            // 000000002AAC: C0021600 00000140
	s_load_dword s89, s[0:1], 0x150                            // 000000002AB4: C0021640 00000150
	v_lshrrev_b32_e32 v1, 10, v0                               // 000000002ABC: 2002008A
	v_lshrrev_b32_e32 v2, 10, v1                               // 000000002AC0: 2004028A
	v_and_b32_e32 v2, 0x3ff, v2                                // 000000002AC4: 260404FF 000003FF
	v_and_b32_e32 v1, 0x3ff, v1                                // 000000002ACC: 260202FF 000003FF
	v_and_b32_e32 v0, 0x3ff, v0                                // 000000002AD4: 260000FF 000003FF
	v_lshrrev_b32_e32 v3, 6, v0                                // 000000002ADC: 20060086
	v_and_b32_e32 v0, 63, v0                                   // 000000002AE0: 260000BF
	s_mov_b32 s2, s2                                           // 000000002AE4: BE820002
	s_mov_b32 s3, s3                                           // 000000002AE8: BE830003
	s_mov_b32 s4, s4                                           // 000000002AEC: BE840004
	v_readfirstlane_b32 s7, v3                                 // 000000002AF0: 7E0E0503
	s_waitcnt lgkmcnt(0)                                       // 000000002AF4: BF8CC07F
	s_and_b32 s49, s49, 0xffff                                 // 000000002AF8: 8631FF31 0000FFFF
	s_load_dword s48, s[48:49], 0x0                            // 000000002B00: C0020C18 00000000
	s_and_b32 s45, s45, 0xffff                                 // 000000002B08: 862DFF2D 0000FFFF
	s_and_b32 s9, s9, 0xffff                                   // 000000002B10: 8609FF09 0000FFFF
	s_mul_i32 s60, s66, s68                                    // 000000002B18: 923C4442
	s_mul_i32 s61, s66, 4                                      // 000000002B1C: 923D8442
	s_mov_b32 s22, s60                                         // 000000002B20: BE96003C
	s_mov_b32 s26, -16                                         // 000000002B24: BE9A00D0
	s_mov_b32 s30, s61                                         // 000000002B28: BE9E003D
	s_mov_b32 s14, 0x80                                        // 000000002B2C: BE8E00FF 00000080
	s_mov_b32 s38, -16                                         // 000000002B34: BEA600D0
	s_mov_b32 s10, -16                                         // 000000002B38: BE8A00D0
	s_lshr_b32 s60, s64, 7                                     // 000000002B3C: 8F3C8740
	s_mul_i32 s61, s60, 4                                      // 000000002B40: 923D843C
	s_lshr_b32 s60, s65, 7                                     // 000000002B44: 8F3C8741
	s_add_u32 s60, s60, 4                                      // 000000002B48: 803C843C
	s_mul_i32 s60, s60, s61                                    // 000000002B4C: 923C3D3C
	s_mov_b32 s34, s60                                         // 000000002B50: BEA2003C
	s_mov_b32 s23, 0x20000                                     // 000000002B54: BE9700FF 00020000
	s_mov_b32 s27, 0x20000                                     // 000000002B5C: BE9B00FF 00020000
	s_mov_b32 s31, 0x20000                                     // 000000002B64: BE9F00FF 00020000
	s_mov_b32 s35, 0x20000                                     // 000000002B6C: BEA300FF 00020000
	s_mov_b32 s15, 0x20000                                     // 000000002B74: BE8F00FF 00020000
	s_mov_b32 s39, 0x20000                                     // 000000002B7C: BEA700FF 00020000
	s_mov_b32 s11, 0x20000                                     // 000000002B84: BE8B00FF 00020000
	s_and_b32 s21, s21, 0xffff                                 // 000000002B8C: 8615FF15 0000FFFF
	s_and_b32 s25, s25, 0xffff                                 // 000000002B94: 8619FF19 0000FFFF
	s_and_b32 s29, s29, 0xffff                                 // 000000002B9C: 861DFF1D 0000FFFF
	s_and_b32 s33, s33, 0xffff                                 // 000000002BA4: 8621FF21 0000FFFF
	s_and_b32 s13, s13, 0xffff                                 // 000000002BAC: 860DFF0D 0000FFFF
	s_and_b32 s37, s37, 0xffff                                 // 000000002BB4: 8625FF25 0000FFFF
	s_or_b32 s21, s21, 0x40000                                 // 000000002BBC: 8715FF15 00040000
	s_or_b32 s25, s25, 0x40000                                 // 000000002BC4: 8719FF19 00040000
	s_or_b32 s29, s29, 0x40000                                 // 000000002BCC: 871DFF1D 00040000
	s_or_b32 s33, s33, 0x40000                                 // 000000002BD4: 8721FF21 00040000
	s_or_b32 s13, s13, 0x40000                                 // 000000002BDC: 870DFF0D 00040000
	s_or_b32 s37, s37, 0x40000                                 // 000000002BE4: 8725FF25 00040000
	v_accvgpr_write_b32 a223, 0                                // 000000002BEC: D3D940DF 18000080
	v_mov_b32_e32 v179, 0                                      // 000000002BF4: 7F660280
	s_waitcnt lgkmcnt(0)                                       // 000000002BF8: BF8CC07F
	s_mul_i32 s60, s3, 32                                      // 000000002BFC: 923CA003
	s_cmp_lt_i32 s60, s48                                      // 000000002C00: BF04303C
	s_cbranch_scc0 label_3B28                                  // 000000002C04: BF843AA3
	s_mov_b32 s80, 0                                           // 000000002C08: BED00080
	s_lshr_b32 s81, s64, s88                                   // 000000002C0C: 8F515840
	s_mul_i32 s60, s3, 4                                       // 000000002C10: 923C8403
	s_add_u32 s44, s60, s44                                    // 000000002C14: 802C2C3C
	s_addc_u32 s45, 0, s45                                     // 000000002C18: 822D2D80
	s_load_dword s5, s[44:45], 0x0                             // 000000002C1C: C0020156 00000000
	s_mul_i32 s60, s3, 32                                      // 000000002C24: 923CA003
	s_mul_i32 s60, 4, s60                                      // 000000002C28: 923C3C84
	s_add_u32 s12, s60, s12                                    // 000000002C2C: 800C0C3C
	s_addc_u32 s13, 0, s13                                     // 000000002C30: 820D0D80
	v_and_b32_e32 v4, 15, v0                                   // 000000002C34: 2608008F
	v_lshlrev_b32_e32 v4, 2, v4                                // 000000002C38: 24080882
	buffer_load_dword v30, v4, s[12:15], 0 offen               // 000000002C3C: E0501000 80031E04
	v_add_u32_e32 v4, 64, v4                                   // 000000002C44: 680808C0
	buffer_load_dword v31, v4, s[12:15], 0 offen               // 000000002C48: E0501000 80031F04
	v_add_u32_e32 v4, 64, v4                                   // 000000002C50: 680808C0
	s_mul_i32 s60, 4, s7                                       // 000000002C54: 923C0784
	v_lshlrev_b32_e32 v4, 4, v0                                // 000000002C58: 24080084
	v_add_u32_e32 v4, s60, v4                                  // 000000002C5C: 6808083C
	buffer_load_dword v3, v4, s[12:15], 0 offen                // 000000002C60: E0501000 80030304
	v_mov_b32_e32 v52, 0                                       // 000000002C68: 7E680280
	v_mov_b32_e32 v116, 0                                      // 000000002C6C: 7EE80280
	v_mov_b32_e32 v53, 0                                       // 000000002C70: 7E6A0280
	v_mov_b32_e32 v117, 0                                      // 000000002C74: 7EEA0280
	v_mov_b32_e32 v54, 0                                       // 000000002C78: 7E6C0280
	v_mov_b32_e32 v118, 0                                      // 000000002C7C: 7EEC0280
	v_mov_b32_e32 v55, 0                                       // 000000002C80: 7E6E0280
	v_mov_b32_e32 v119, 0                                      // 000000002C84: 7EEE0280
	v_mov_b32_e32 v56, 0                                       // 000000002C88: 7E700280
	v_mov_b32_e32 v120, 0                                      // 000000002C8C: 7EF00280
	v_mov_b32_e32 v57, 0                                       // 000000002C90: 7E720280
	v_mov_b32_e32 v121, 0                                      // 000000002C94: 7EF20280
	v_mov_b32_e32 v58, 0                                       // 000000002C98: 7E740280
	v_mov_b32_e32 v122, 0                                      // 000000002C9C: 7EF40280
	v_mov_b32_e32 v59, 0                                       // 000000002CA0: 7E760280
	v_mov_b32_e32 v123, 0                                      // 000000002CA4: 7EF60280
	v_mov_b32_e32 v60, 0                                       // 000000002CA8: 7E780280
	v_mov_b32_e32 v124, 0                                      // 000000002CAC: 7EF80280
	v_mov_b32_e32 v61, 0                                       // 000000002CB0: 7E7A0280
	v_mov_b32_e32 v125, 0                                      // 000000002CB4: 7EFA0280
	v_mov_b32_e32 v62, 0                                       // 000000002CB8: 7E7C0280
	v_mov_b32_e32 v126, 0                                      // 000000002CBC: 7EFC0280
	v_mov_b32_e32 v63, 0                                       // 000000002CC0: 7E7E0280
	v_mov_b32_e32 v127, 0                                      // 000000002CC4: 7EFE0280
	v_mov_b32_e32 v64, 0                                       // 000000002CC8: 7E800280
	v_mov_b32_e32 v128, 0                                      // 000000002CCC: 7F000280
	v_mov_b32_e32 v65, 0                                       // 000000002CD0: 7E820280
	v_mov_b32_e32 v129, 0                                      // 000000002CD4: 7F020280
	v_mov_b32_e32 v66, 0                                       // 000000002CD8: 7E840280
	v_mov_b32_e32 v130, 0                                      // 000000002CDC: 7F040280
	v_mov_b32_e32 v67, 0                                       // 000000002CE0: 7E860280
	v_mov_b32_e32 v131, 0                                      // 000000002CE4: 7F060280
	v_mov_b32_e32 v68, 0                                       // 000000002CE8: 7E880280
	v_mov_b32_e32 v132, 0                                      // 000000002CEC: 7F080280
	v_mov_b32_e32 v69, 0                                       // 000000002CF0: 7E8A0280
	v_mov_b32_e32 v133, 0                                      // 000000002CF4: 7F0A0280
	v_mov_b32_e32 v70, 0                                       // 000000002CF8: 7E8C0280
	v_mov_b32_e32 v134, 0                                      // 000000002CFC: 7F0C0280
	v_mov_b32_e32 v71, 0                                       // 000000002D00: 7E8E0280
	v_mov_b32_e32 v135, 0                                      // 000000002D04: 7F0E0280
	v_mov_b32_e32 v72, 0                                       // 000000002D08: 7E900280
	v_mov_b32_e32 v136, 0                                      // 000000002D0C: 7F100280
	v_mov_b32_e32 v73, 0                                       // 000000002D10: 7E920280
	v_mov_b32_e32 v137, 0                                      // 000000002D14: 7F120280
	v_mov_b32_e32 v74, 0                                       // 000000002D18: 7E940280
	v_mov_b32_e32 v138, 0                                      // 000000002D1C: 7F140280
	v_mov_b32_e32 v75, 0                                       // 000000002D20: 7E960280
	v_mov_b32_e32 v139, 0                                      // 000000002D24: 7F160280
	v_mov_b32_e32 v76, 0                                       // 000000002D28: 7E980280
	v_mov_b32_e32 v140, 0                                      // 000000002D2C: 7F180280
	v_mov_b32_e32 v77, 0                                       // 000000002D30: 7E9A0280
	v_mov_b32_e32 v141, 0                                      // 000000002D34: 7F1A0280
	v_mov_b32_e32 v78, 0                                       // 000000002D38: 7E9C0280
	v_mov_b32_e32 v142, 0                                      // 000000002D3C: 7F1C0280
	v_mov_b32_e32 v79, 0                                       // 000000002D40: 7E9E0280
	v_mov_b32_e32 v143, 0                                      // 000000002D44: 7F1E0280
	v_mov_b32_e32 v80, 0                                       // 000000002D48: 7EA00280
	v_mov_b32_e32 v144, 0                                      // 000000002D4C: 7F200280
	v_mov_b32_e32 v81, 0                                       // 000000002D50: 7EA20280
	v_mov_b32_e32 v145, 0                                      // 000000002D54: 7F220280
	v_mov_b32_e32 v82, 0                                       // 000000002D58: 7EA40280
	v_mov_b32_e32 v146, 0                                      // 000000002D5C: 7F240280
	v_mov_b32_e32 v83, 0                                       // 000000002D60: 7EA60280
	v_mov_b32_e32 v147, 0                                      // 000000002D64: 7F260280
	v_mov_b32_e32 v84, 0                                       // 000000002D68: 7EA80280
	v_mov_b32_e32 v148, 0                                      // 000000002D6C: 7F280280
	v_mov_b32_e32 v85, 0                                       // 000000002D70: 7EAA0280
	v_mov_b32_e32 v149, 0                                      // 000000002D74: 7F2A0280
	v_mov_b32_e32 v86, 0                                       // 000000002D78: 7EAC0280
	v_mov_b32_e32 v150, 0                                      // 000000002D7C: 7F2C0280
	v_mov_b32_e32 v87, 0                                       // 000000002D80: 7EAE0280
	v_mov_b32_e32 v151, 0                                      // 000000002D84: 7F2E0280
	v_mov_b32_e32 v88, 0                                       // 000000002D88: 7EB00280
	v_mov_b32_e32 v152, 0                                      // 000000002D8C: 7F300280
	v_mov_b32_e32 v89, 0                                       // 000000002D90: 7EB20280
	v_mov_b32_e32 v153, 0                                      // 000000002D94: 7F320280
	v_mov_b32_e32 v90, 0                                       // 000000002D98: 7EB40280
	v_mov_b32_e32 v154, 0                                      // 000000002D9C: 7F340280
	v_mov_b32_e32 v91, 0                                       // 000000002DA0: 7EB60280
	v_mov_b32_e32 v155, 0                                      // 000000002DA4: 7F360280
	v_mov_b32_e32 v92, 0                                       // 000000002DA8: 7EB80280
	v_mov_b32_e32 v156, 0                                      // 000000002DAC: 7F380280
	v_mov_b32_e32 v93, 0                                       // 000000002DB0: 7EBA0280
	v_mov_b32_e32 v157, 0                                      // 000000002DB4: 7F3A0280
	v_mov_b32_e32 v94, 0                                       // 000000002DB8: 7EBC0280
	v_mov_b32_e32 v158, 0                                      // 000000002DBC: 7F3C0280
	v_mov_b32_e32 v95, 0                                       // 000000002DC0: 7EBE0280
	v_mov_b32_e32 v159, 0                                      // 000000002DC4: 7F3E0280
	v_mov_b32_e32 v96, 0                                       // 000000002DC8: 7EC00280
	v_mov_b32_e32 v160, 0                                      // 000000002DCC: 7F400280
	v_mov_b32_e32 v97, 0                                       // 000000002DD0: 7EC20280
	v_mov_b32_e32 v161, 0                                      // 000000002DD4: 7F420280
	v_mov_b32_e32 v98, 0                                       // 000000002DD8: 7EC40280
	v_mov_b32_e32 v162, 0                                      // 000000002DDC: 7F440280
	v_mov_b32_e32 v99, 0                                       // 000000002DE0: 7EC60280
	v_mov_b32_e32 v163, 0                                      // 000000002DE4: 7F460280
	v_mov_b32_e32 v100, 0                                      // 000000002DE8: 7EC80280
	v_mov_b32_e32 v164, 0                                      // 000000002DEC: 7F480280
	v_mov_b32_e32 v101, 0                                      // 000000002DF0: 7ECA0280
	v_mov_b32_e32 v165, 0                                      // 000000002DF4: 7F4A0280
	v_mov_b32_e32 v102, 0                                      // 000000002DF8: 7ECC0280
	v_mov_b32_e32 v166, 0                                      // 000000002DFC: 7F4C0280
	v_mov_b32_e32 v103, 0                                      // 000000002E00: 7ECE0280
	v_mov_b32_e32 v167, 0                                      // 000000002E04: 7F4E0280
	v_mov_b32_e32 v104, 0                                      // 000000002E08: 7ED00280
	v_mov_b32_e32 v168, 0                                      // 000000002E0C: 7F500280
	v_mov_b32_e32 v105, 0                                      // 000000002E10: 7ED20280
	v_mov_b32_e32 v169, 0                                      // 000000002E14: 7F520280
	v_mov_b32_e32 v106, 0                                      // 000000002E18: 7ED40280
	v_mov_b32_e32 v170, 0                                      // 000000002E1C: 7F540280
	v_mov_b32_e32 v107, 0                                      // 000000002E20: 7ED60280
	v_mov_b32_e32 v171, 0                                      // 000000002E24: 7F560280
	v_mov_b32_e32 v108, 0                                      // 000000002E28: 7ED80280
	v_mov_b32_e32 v172, 0                                      // 000000002E2C: 7F580280
	v_mov_b32_e32 v109, 0                                      // 000000002E30: 7EDA0280
	v_mov_b32_e32 v173, 0                                      // 000000002E34: 7F5A0280
	v_mov_b32_e32 v110, 0                                      // 000000002E38: 7EDC0280
	v_mov_b32_e32 v174, 0                                      // 000000002E3C: 7F5C0280
	v_mov_b32_e32 v111, 0                                      // 000000002E40: 7EDE0280
	v_mov_b32_e32 v175, 0                                      // 000000002E44: 7F5E0280
	v_mov_b32_e32 v112, 0                                      // 000000002E48: 7EE00280
	v_mov_b32_e32 v176, 0                                      // 000000002E4C: 7F600280
	v_mov_b32_e32 v113, 0                                      // 000000002E50: 7EE20280
	v_mov_b32_e32 v177, 0                                      // 000000002E54: 7F620280
	v_mov_b32_e32 v114, 0                                      // 000000002E58: 7EE40280
	v_mov_b32_e32 v178, 0                                      // 000000002E5C: 7F640280
	v_mov_b32_e32 v115, 0                                      // 000000002E60: 7EE60280
	v_mov_b32_e32 v179, 0                                      // 000000002E64: 7F660280
	s_mul_i32 s60, s2, 0x200                                   // 000000002E68: 923CFF02 00000200
	s_cmp_eq_u32 s88, 0                                        // 000000002E70: BF068058
	s_cselect_b32 s61, 1, 4                                    // 000000002E74: 853D8481
	s_mul_i32 s60, s60, s61                                    // 000000002E78: 923C3D3C
	s_mov_b32 s90, s8                                          // 000000002E7C: BEDA0008
	s_mov_b32 s91, s9                                          // 000000002E80: BEDB0009
	s_add_u32 s8, s60, s8                                      // 000000002E84: 8008083C
	s_addc_u32 s9, 0, s9                                       // 000000002E88: 82090980
	v_lshrrev_b32_e32 v4, 4, v0                                // 000000002E8C: 20080084
	v_mul_lo_u32 v20, 34, v4                                   // 000000002E90: D2850014 000208A2
	v_and_b32_e32 v4, 15, v0                                   // 000000002E98: 2608008F
	v_mul_lo_u32 v5, 2, v4                                     // 000000002E9C: D2850005 00020882
	v_add_u32_e32 v20, v5, v20                                 // 000000002EA4: 68282905
	s_mul_i32 s60, s7, 0x88                                    // 000000002EA8: 923CFF07 00000088
	v_add_u32_e32 v20, s60, v20                                // 000000002EB0: 6828283C
	v_lshlrev_b32_e32 v20, 2, v20                              // 000000002EB4: 24282882
	v_and_b32_e32 v4, 31, v0                                   // 000000002EB8: 2608009F
	v_lshrrev_b32_e32 v4, 1, v4                                // 000000002EBC: 20080881
	v_mul_lo_u32 v21, 34, v4                                   // 000000002EC0: D2850015 000208A2
	v_lshrrev_b32_e32 v4, 5, v0                                // 000000002EC8: 20080085
	v_mul_lo_u32 v4, 8, v4                                     // 000000002ECC: D2850004 00020888
	v_add_u32_e32 v21, v21, v4                                 // 000000002ED4: 682A0915
	v_and_b32_e32 v5, 1, v0                                    // 000000002ED8: 260A0081
	v_add_u32_e32 v21, v5, v21                                 // 000000002EDC: 682A2B05
	s_mul_i32 s60, s7, 2                                       // 000000002EE0: 923C8207
	v_add_u32_e32 v21, s60, v21                                // 000000002EE4: 682A2A3C
	v_lshlrev_b32_e32 v21, 2, v21                              // 000000002EE8: 242A2A82
	s_mul_i32 s60, s7, 0x420                                   // 000000002EEC: 923CFF07 00000420
	s_add_u32 s48, 0, s60                                      // 000000002EF4: 80303C80
	s_add_u32 s49, 0x1080, s48                                 // 000000002EF8: 803130FF 00001080
	s_add_u32 s50, 0x1080, s49                                 // 000000002F00: 803231FF 00001080
	v_lshrrev_b32_e32 v4, 4, v0                                // 000000002F08: 20080084
	v_lshlrev_b32_e32 v5, 2, v4                                // 000000002F0C: 240A0882
	v_and_b32_e32 v4, 15, v0                                   // 000000002F10: 2608008F
	v_lshrrev_b32_e32 v6, 2, v4                                // 000000002F14: 200C0882
	v_lshlrev_b32_e32 v6, 5, v6                                // 000000002F18: 240C0C85
	v_add_u32_e32 v5, v6, v5                                   // 000000002F1C: 680A0B06
	v_and_b32_e32 v4, 3, v0                                    // 000000002F20: 26080083
	v_mul_u32_u24_e32 v6, 0x108, v4                            // 000000002F24: 100C08FF 00000108
	v_add_u32_e32 v5, v6, v5                                   // 000000002F2C: 680A0B06
	v_lshlrev_b32_e32 v2, 2, v5                                // 000000002F30: 24040A82
	s_waitcnt lgkmcnt(0)                                       // 000000002F34: BF8CC07F
	s_mul_i32 s60, s2, 0x200                                   // 000000002F38: 923CFF02 00000200
	s_mul_i32 s60, s60, s69                                    // 000000002F40: 923C453C
	s_mul_i32 s61, s5, s72                                     // 000000002F44: 923D4805
	s_add_u32 s60, s61, s60                                    // 000000002F48: 803C3C3D
	s_add_u32 s24, s60, s24                                    // 000000002F4C: 8018183C
	s_addc_u32 s25, 0, s25                                     // 000000002F50: 82191980
	s_lshr_b32 s60, s64, s88                                   // 000000002F54: 8F3C5840
	s_mul_i32 s60, s4, s60                                     // 000000002F58: 923C3C04
	s_lshr_b32 s60, s60, 7                                     // 000000002F5C: 8F3C873C
	s_mul_i32 s60, s60, 0x800                                  // 000000002F60: 923CFF3C 00000800
	s_add_u32 s24, s60, s24                                    // 000000002F68: 8018183C
	s_addc_u32 s25, 0, s25                                     // 000000002F6C: 82191980
	s_lshr_b32 s60, s69, s88                                   // 000000002F70: 8F3C5845
	s_mul_i32 s60, s4, s60                                     // 000000002F74: 923C3C04
	s_add_u32 s20, s60, s20                                    // 000000002F78: 8014143C
	s_addc_u32 s21, 0, s21                                     // 000000002F7C: 82151580
	s_mul_i32 s60, s7, 16                                      // 000000002F80: 923C9007
	s_mul_i32 s60, s60, s69                                    // 000000002F84: 923C453C
	v_lshlrev_b32_e32 v42, 4, v0                               // 000000002F88: 24540084
	v_add_u32_e32 v42, s60, v42                                // 000000002F8C: 6854543C
	s_mul_i32 s60, 64, s69                                     // 000000002F90: 923C45C0
	v_add_u32_e32 v43, s60, v42                                // 000000002F94: 6856543C
	v_add_u32_e32 v44, s60, v43                                // 000000002F98: 6858563C
	v_add_u32_e32 v45, s60, v44                                // 000000002F9C: 685A583C
	v_add_u32_e32 v46, s60, v45                                // 000000002FA0: 685C5A3C
	v_add_u32_e32 v47, s60, v46                                // 000000002FA4: 685E5C3C
	v_add_u32_e32 v48, s60, v47                                // 000000002FA8: 68605E3C
	v_add_u32_e32 v49, s60, v48                                // 000000002FAC: 6862603C
	s_mov_b32 s84, s24                                         // 000000002FB0: BED40018
	s_mov_b32 s85, s25                                         // 000000002FB4: BED50019
	s_mov_b32 s86, s26                                         // 000000002FB8: BED6001A
	s_mov_b32 s87, s27                                         // 000000002FBC: BED7001B
	s_mul_i32 s60, s69, s65                                    // 000000002FC0: 923C4145
	s_add_u32 s84, s60, s84                                    // 000000002FC4: 8054543C
	s_addc_u32 s85, 0, s85                                     // 000000002FC8: 82555580
	s_lshr_b32 s60, s64, 7                                     // 000000002FCC: 8F3C8740
	s_mul_i32 s61, s60, 4                                      // 000000002FD0: 923D843C
	v_and_b32_e32 v22, 15, v0                                  // 000000002FD4: 262C008F
	v_mul_lo_u32 v22, v22, s61                                 // 000000002FD8: D2850016 00007B16
	s_lshr_b32 s60, s65, 7                                     // 000000002FE0: 8F3C8741
	s_mul_i32 s60, s60, s61                                    // 000000002FE4: 923C3D3C
	v_add_u32_e64 v23, v22, s60                                // 000000002FE8: D1340017 00007916
	s_mul_i32 s60, s2, 4                                       // 000000002FF0: 923C8402
	s_mul_i32 s60, s60, s61                                    // 000000002FF4: 923C3D3C
	s_mul_i32 s61, s5, s74                                     // 000000002FF8: 923D4A05
	s_add_u32 s61, s61, s60                                    // 000000002FFC: 803D3C3D
	s_add_u32 s32, s61, s32                                    // 000000003000: 8020203D
	s_addc_u32 s33, 0, s33                                     // 000000003004: 82212180
	s_lshr_b32 s60, s64, 7                                     // 000000003008: 8F3C8740
	s_lshr_b32 s60, s60, s88                                   // 00000000300C: 8F3C583C
	s_mul_i32 s60, s4, s60                                     // 000000003010: 923C3C04
	s_mul_i32 s61, s60, 4                                      // 000000003014: 923D843C
	s_add_u32 s32, s61, s32                                    // 000000003018: 8020203D
	s_addc_u32 s33, 0, s33                                     // 00000000301C: 82212180
	s_lshl_b32 s62, s66, 2                                     // 000000003020: 8E3E8242
	s_mul_i32 s62, s60, s62                                    // 000000003024: 923E3E3C
	s_add_u32 s28, s62, s28                                    // 000000003028: 801C1C3E
	s_addc_u32 s29, 0, s29                                     // 00000000302C: 821D1D80
	s_mov_b32 s4, 4                                            // 000000003030: BE840084
	s_mov_b32 s57, 0x80                                        // 000000003034: BEB900FF 00000080
	s_mov_b32 s58, 0x800                                       // 00000000303C: BEBA00FF 00000800
	s_mov_b32 s83, s58                                         // 000000003044: BED3003A
	s_mov_b32 s52, 0x7060302                                   // 000000003048: BEB400FF 07060302
	s_mov_b32 s53, 0x400                                       // 000000003050: BEB500FF 00000400
	s_mov_b32 s54, 0x40100                                     // 000000003058: BEB600FF 00040100
	s_mov_b32 s55, 0x4020100                                   // 000000003060: BEB700FF 04020100
	s_mov_b32 s6, 0x3fb8aa3b                                   // 000000003068: BE8600FF 3FB8AA3B
	s_mov_b32 s78, 0xbd92220c                                  // 000000003070: BECE00FF BD92220C
	s_mov_b32 s79, 0xbd92220c                                  // 000000003078: BECF00FF BD92220C
	s_mov_b32 m0, s48                                          // 000000003080: BEFC0030
	v_mov_b32_e32 v1, 0xbfcc4231                               // 000000003084: 7E0202FF BFCC4231
	v_mov_b32_e32 v17, 0xffff0000                              // 00000000308C: 7E2202FF FFFF0000
	v_mov_b32_e32 v18, 0x7fff0000                              // 000000003094: 7E2402FF 7FFF0000
	v_mov_b32_e32 v19, 0x7fff                                  // 00000000309C: 7E2602FF 00007FFF
	s_waitcnt vmcnt(0) expcnt(0) lgkmcnt(0)                    // 0000000030A4: BF8C0000
	v_lshrrev_b32_e32 v4, 5, v0                                // 0000000030A8: 20080085
	v_xor_b32_e32 v5, 1, v4                                    // 0000000030AC: 2A0A0881
	v_readlane_b32 s82, v3, 0                                  // 0000000030B0: D2890052 00010103
	s_and_b32 s82, s82, 0xffffff                               // 0000000030B8: 8652FF52 00FFFFFF
	v_mul_lo_u32 v6, v5, s82                                   // 0000000030C0: D2850006 0000A505
	v_readlane_b32 s82, v3, 1                                  // 0000000030C8: D2890052 00010303
	s_and_b32 s82, s82, 0xffffff                               // 0000000030D0: 8652FF52 00FFFFFF
	v_mul_lo_u32 v7, v4, s82                                   // 0000000030D8: D2850007 0000A504
	v_add_u32_e32 v38, v6, v7                                  // 0000000030E0: 684C0F06
	v_mul_lo_u32 v38, v38, s68                                 // 0000000030E4: D2850026 00008926
	v_readlane_b32 s82, v3, 2                                  // 0000000030EC: D2890052 00010503
	s_and_b32 s82, s82, 0xffffff                               // 0000000030F4: 8652FF52 00FFFFFF
	v_mul_lo_u32 v6, v5, s82                                   // 0000000030FC: D2850006 0000A505
	v_readlane_b32 s82, v3, 3                                  // 000000003104: D2890052 00010703
	s_and_b32 s82, s82, 0xffffff                               // 00000000310C: 8652FF52 00FFFFFF
	v_mul_lo_u32 v7, v4, s82                                   // 000000003114: D2850007 0000A504
	v_add_u32_e32 v39, v6, v7                                  // 00000000311C: 684E0F06
	v_mul_lo_u32 v39, v39, s68                                 // 000000003120: D2850027 00008927
	v_readlane_b32 s82, v3, 4                                  // 000000003128: D2890052 00010903
	s_and_b32 s82, s82, 0xffffff                               // 000000003130: 8652FF52 00FFFFFF
	v_mul_lo_u32 v6, v5, s82                                   // 000000003138: D2850006 0000A505
	v_readlane_b32 s82, v3, 5                                  // 000000003140: D2890052 00010B03
	s_and_b32 s82, s82, 0xffffff                               // 000000003148: 8652FF52 00FFFFFF
	v_mul_lo_u32 v7, v4, s82                                   // 000000003150: D2850007 0000A504
	v_add_u32_e32 v40, v6, v7                                  // 000000003158: 68500F06
	v_mul_lo_u32 v40, v40, s68                                 // 00000000315C: D2850028 00008928
	v_readlane_b32 s82, v3, 6                                  // 000000003164: D2890052 00010D03
	s_and_b32 s82, s82, 0xffffff                               // 00000000316C: 8652FF52 00FFFFFF
	v_mul_lo_u32 v6, v5, s82                                   // 000000003174: D2850006 0000A505
	v_readlane_b32 s82, v3, 7                                  // 00000000317C: D2890052 00010F03
	s_and_b32 s82, s82, 0xffffff                               // 000000003184: 8652FF52 00FFFFFF
	v_mul_lo_u32 v7, v4, s82                                   // 00000000318C: D2850007 0000A504
	v_add_u32_e32 v41, v6, v7                                  // 000000003194: 68520F06
	v_mul_lo_u32 v41, v41, s68                                 // 000000003198: D2850029 00008929
	v_and_b32_e32 v4, 31, v0                                   // 0000000031A0: 2608009F
	v_lshlrev_b32_e32 v4, 2, v4                                // 0000000031A4: 24080882
	v_add_u32_e32 v38, v38, v4                                 // 0000000031A8: 684C0926
	v_add_u32_e32 v39, v39, v4                                 // 0000000031AC: 684E0927
	v_add_u32_e32 v40, v40, v4                                 // 0000000031B0: 68500928
	v_add_u32_e32 v41, v41, v4                                 // 0000000031B4: 68520929
	v_and_b32_e32 v30, 0xffffff, v30                           // 0000000031B8: 263C3CFF 00FFFFFF
	v_lshlrev_b32_e32 v30, 2, v30                              // 0000000031C0: 243C3C82
	v_and_b32_e32 v31, 0xffffff, v31                           // 0000000031C4: 263E3EFF 00FFFFFF
	v_lshlrev_b32_e32 v31, 2, v31                              // 0000000031CC: 243E3E82
	s_lshl_b32 s3, s66, 2                                      // 0000000031D0: 8E038242
	buffer_load_dword v38, s[20:23], 0 offen lds               // 0000000031D4: E0511000 80050026
	s_add_u32 m0, 0x100, s48                                   // 0000000031DC: 807C30FF 00000100
	buffer_load_dword v39, s[20:23], 0 offen lds               // 0000000031E4: E0511000 80050027
	s_add_u32 m0, 0x200, s48                                   // 0000000031EC: 807C30FF 00000200
	buffer_load_dword v40, s[20:23], 0 offen lds               // 0000000031F4: E0511000 80050028
	s_add_u32 m0, 0x300, s48                                   // 0000000031FC: 807C30FF 00000300
	buffer_load_dword v41, s[20:23], 0 offen lds               // 000000003204: E0511000 80050029
	s_add_u32 m0, 0, s49                                       // 00000000320C: 807C3180
	s_add_u32 s20, s57, s20                                    // 000000003210: 80141439
	s_addc_u32 s21, 0, s21                                     // 000000003214: 82151580
	buffer_load_dword v32, v30, s[28:31], 0 offen              // 000000003218: E0501000 8007201E
	buffer_load_dword v33, v31, s[28:31], 0 offen              // 000000003220: E0501000 8007211F
	s_add_u32 s28, s3, s28                                     // 000000003228: 801C1C03
	s_addc_u32 s29, 0, s29                                     // 00000000322C: 821D1D80
	buffer_load_dwordx4 a[32:35], v42, s[24:27], 0 offen       // 000000003230: E05C1000 8086202A
	buffer_load_dwordx4 a[36:39], v42, s[24:27], 0 offen offset:1024// 000000003238: E05C1400 8086242A
	buffer_load_dwordx4 a[40:43], v43, s[24:27], 0 offen       // 000000003240: E05C1000 8086282B
	buffer_load_dwordx4 a[44:47], v43, s[24:27], 0 offen offset:1024// 000000003248: E05C1400 80862C2B
	buffer_load_dwordx4 a[48:51], v44, s[24:27], 0 offen       // 000000003250: E05C1000 8086302C
	buffer_load_dwordx4 a[52:55], v44, s[24:27], 0 offen offset:1024// 000000003258: E05C1400 8086342C
	buffer_load_dwordx4 a[56:59], v45, s[24:27], 0 offen       // 000000003260: E05C1000 8086382D
	buffer_load_dwordx4 a[60:63], v45, s[24:27], 0 offen offset:1024// 000000003268: E05C1400 80863C2D
	buffer_load_dwordx4 a[64:67], v46, s[24:27], 0 offen       // 000000003270: E05C1000 8086402E
	buffer_load_dwordx4 a[68:71], v46, s[24:27], 0 offen offset:1024// 000000003278: E05C1400 8086442E
	buffer_load_dwordx4 a[72:75], v47, s[24:27], 0 offen       // 000000003280: E05C1000 8086482F
	buffer_load_dwordx4 a[76:79], v47, s[24:27], 0 offen offset:1024// 000000003288: E05C1400 80864C2F
	buffer_load_dwordx4 a[80:83], v48, s[24:27], 0 offen       // 000000003290: E05C1000 80865030
	buffer_load_dwordx4 a[84:87], v48, s[24:27], 0 offen offset:1024// 000000003298: E05C1400 80865430
	buffer_load_dwordx4 a[88:91], v49, s[24:27], 0 offen       // 0000000032A0: E05C1000 80865831
	buffer_load_dwordx4 a[92:95], v49, s[24:27], 0 offen offset:1024// 0000000032A8: E05C1400 80865C31
	s_add_u32 s24, s58, s24                                    // 0000000032B0: 8018183A
	s_addc_u32 s25, 0, s25                                     // 0000000032B4: 82191980
	buffer_load_dword v24, v22, s[32:35], 0 offen              // 0000000032B8: E0501000 80081816
	buffer_load_dword v38, s[20:23], 0 offen lds               // 0000000032C0: E0511000 80050026
	s_add_u32 m0, 0x100, s49                                   // 0000000032C8: 807C31FF 00000100
	buffer_load_dword v39, s[20:23], 0 offen lds               // 0000000032D0: E0511000 80050027
	s_add_u32 m0, 0x200, s49                                   // 0000000032D8: 807C31FF 00000200
	buffer_load_dword v40, s[20:23], 0 offen lds               // 0000000032E0: E0511000 80050028
	s_add_u32 m0, 0x300, s49                                   // 0000000032E8: 807C31FF 00000300
	buffer_load_dword v41, s[20:23], 0 offen lds               // 0000000032F0: E0511000 80050029
	s_add_u32 m0, 0, s50                                       // 0000000032F8: 807C3280
	s_add_u32 s20, s57, s20                                    // 0000000032FC: 80141439
	s_addc_u32 s21, 0, s21                                     // 000000003300: 82151580
	buffer_load_dword v34, v30, s[28:31], 0 offen              // 000000003304: E0501000 8007221E
	buffer_load_dword v35, v31, s[28:31], 0 offen              // 00000000330C: E0501000 8007231F
	s_add_u32 s28, s3, s28                                     // 000000003314: 801C1C03
	s_addc_u32 s29, 0, s29                                     // 000000003318: 821D1D80
	buffer_load_dwordx4 a[96:99], v42, s[84:87], 0 offen       // 00000000331C: E05C1000 8095602A
	buffer_load_dwordx4 a[100:103], v42, s[84:87], 0 offen offset:1024// 000000003324: E05C1400 8095642A
	buffer_load_dwordx4 a[104:107], v43, s[84:87], 0 offen     // 00000000332C: E05C1000 8095682B
	buffer_load_dwordx4 a[108:111], v43, s[84:87], 0 offen offset:1024// 000000003334: E05C1400 80956C2B
	buffer_load_dwordx4 a[112:115], v44, s[84:87], 0 offen     // 00000000333C: E05C1000 8095702C
	buffer_load_dwordx4 a[116:119], v44, s[84:87], 0 offen offset:1024// 000000003344: E05C1400 8095742C
	buffer_load_dwordx4 a[120:123], v45, s[84:87], 0 offen     // 00000000334C: E05C1000 8095782D
	buffer_load_dwordx4 a[124:127], v45, s[84:87], 0 offen offset:1024// 000000003354: E05C1400 80957C2D
	buffer_load_dwordx4 a[128:131], v46, s[84:87], 0 offen     // 00000000335C: E05C1000 8095802E
	buffer_load_dwordx4 a[132:135], v46, s[84:87], 0 offen offset:1024// 000000003364: E05C1400 8095842E
	buffer_load_dwordx4 a[136:139], v47, s[84:87], 0 offen     // 00000000336C: E05C1000 8095882F
	buffer_load_dwordx4 a[140:143], v47, s[84:87], 0 offen offset:1024// 000000003374: E05C1400 80958C2F
	buffer_load_dwordx4 a[144:147], v48, s[84:87], 0 offen     // 00000000337C: E05C1000 80959030
	buffer_load_dwordx4 a[148:151], v48, s[84:87], 0 offen offset:1024// 000000003384: E05C1400 80959430
	buffer_load_dwordx4 a[152:155], v49, s[84:87], 0 offen     // 00000000338C: E05C1000 80959831
	buffer_load_dwordx4 a[156:159], v49, s[84:87], 0 offen offset:1024// 000000003394: E05C1400 80959C31
	s_add_u32 s84, s83, s84                                    // 00000000339C: 80545453
	s_addc_u32 s85, 0, s85                                     // 0000000033A0: 82555580
	buffer_load_dword v27, v23, s[32:35], 0 offen              // 0000000033A4: E0501000 80081B17
	s_add_u32 s32, s4, s32                                     // 0000000033AC: 80202004
	s_addc_u32 s33, 0, s33                                     // 0000000033B0: 82212180
	s_waitcnt vmcnt(42)                                        // 0000000033B4: BF8C8F7A
	s_barrier                                                  // 0000000033B8: BF8A0000
	ds_read_b128 a[0:3], v2                                    // 0000000033BC: DBFE0000 00000002
	ds_read_b128 a[4:7], v2 offset:64                          // 0000000033C4: DBFE0040 04000002
	ds_read_b128 a[8:11], v2 offset:512                        // 0000000033CC: DBFE0200 08000002
	ds_read_b128 a[12:15], v2 offset:576                       // 0000000033D4: DBFE0240 0C000002
	s_cmp_lt_i32 s7, 2                                         // 0000000033DC: BF048207
	s_cbranch_scc0 label_1ED2                                  // 0000000033E0: BF841C56

00000000000033e4 <label_0279>:
	s_waitcnt vmcnt(23) lgkmcnt(0)                             // 0000000033E4: BF8C4077
	v_mul_f32_dpp v4, v24, v32 row_newbcast:0 row_mask:0xf bank_mask:0xf// 0000000033E8: 0A0840FA FF015018
	v_mfma_f32_16x16x32_fp8_fp8 v[8:11], a[32:33], a[0:1], 0   // 0000000033F0: D3F30008 1A020120
	buffer_load_dword v25, v22, s[32:35], 0 offen              // 0000000033F8: E0501000 80081916
	v_mfma_f32_16x16x32_fp8_fp8 v[8:11], a[34:35], a[2:3], v[8:11]// 000000003400: D3F30008 1C220522
	buffer_load_dwordx4 a[160:163], v42, s[24:27], 0 offen     // 000000003408: E05C1000 8086A02A
	v_mfma_f32_16x16x32_fp8_fp8 v[8:11], a[36:37], a[4:5], v[8:11]// 000000003410: D3F30008 1C220924
	v_mfma_f32_16x16x32_fp8_fp8 v[8:11], a[38:39], a[6:7], v[8:11]// 000000003418: D3F30008 1C220D26
	v_mfma_f32_16x16x32_fp8_fp8 v[12:15], a[40:41], a[0:1], 0  // 000000003420: D3F3000C 1A020128
	v_mfma_f32_16x16x32_fp8_fp8 v[12:15], a[42:43], a[2:3], v[12:15]// 000000003428: D3F3000C 1C32052A
	buffer_load_dwordx4 a[164:167], v42, s[24:27], 0 offen offset:1024// 000000003430: E05C1400 8086A42A
	v_mfma_f32_16x16x32_fp8_fp8 v[12:15], a[44:45], a[4:5], v[12:15]// 000000003438: D3F3000C 1C32092C
	v_mfma_f32_16x16x32_fp8_fp8 v[12:15], a[46:47], a[6:7], v[12:15]// 000000003440: D3F3000C 1C320D2E
	v_fma_f32 v52, v8, v4, v52                                 // 000000003448: D1CB0034 04D20908
	v_fma_f32 v53, v9, v4, v53                                 // 000000003450: D1CB0035 04D60909
	v_fma_f32 v54, v10, v4, v54                                // 000000003458: D1CB0036 04DA090A
	v_fma_f32 v55, v11, v4, v55                                // 000000003460: D1CB0037 04DE090B
	v_mul_f32_dpp v6, v24, v32 row_newbcast:1 row_mask:0xf bank_mask:0xf// 000000003468: 0A0C40FA FF015118
	v_mfma_f32_16x16x32_fp8_fp8 v[8:11], a[48:49], a[0:1], 0   // 000000003470: D3F30008 1A020130
	v_mfma_f32_16x16x32_fp8_fp8 v[8:11], a[50:51], a[2:3], v[8:11]// 000000003478: D3F30008 1C220532
	buffer_load_dwordx4 a[168:171], v43, s[24:27], 0 offen     // 000000003480: E05C1000 8086A82B
	v_mfma_f32_16x16x32_fp8_fp8 v[8:11], a[52:53], a[4:5], v[8:11]// 000000003488: D3F30008 1C220934
	v_mfma_f32_16x16x32_fp8_fp8 v[8:11], a[54:55], a[6:7], v[8:11]// 000000003490: D3F30008 1C220D36
	v_fma_f32 v60, v12, v4, v60                                // 000000003498: D1CB003C 04F2090C
	v_fma_f32 v61, v13, v4, v61                                // 0000000034A0: D1CB003D 04F6090D
	v_fma_f32 v62, v14, v4, v62                                // 0000000034A8: D1CB003E 04FA090E
	v_fma_f32 v63, v15, v4, v63                                // 0000000034B0: D1CB003F 04FE090F
	v_mfma_f32_16x16x32_fp8_fp8 v[12:15], a[56:57], a[0:1], 0  // 0000000034B8: D3F3000C 1A020138
	v_mfma_f32_16x16x32_fp8_fp8 v[12:15], a[58:59], a[2:3], v[12:15]// 0000000034C0: D3F3000C 1C32053A
	buffer_load_dwordx4 a[172:175], v43, s[24:27], 0 offen offset:1024// 0000000034C8: E05C1400 8086AC2B
	v_mfma_f32_16x16x32_fp8_fp8 v[12:15], a[60:61], a[4:5], v[12:15]// 0000000034D0: D3F3000C 1C32093C
	v_mfma_f32_16x16x32_fp8_fp8 v[12:15], a[62:63], a[6:7], v[12:15]// 0000000034D8: D3F3000C 1C320D3E
	v_fma_f32 v68, v8, v6, v68                                 // 0000000034E0: D1CB0044 05120D08
	v_fma_f32 v69, v9, v6, v69                                 // 0000000034E8: D1CB0045 05160D09
	v_fma_f32 v70, v10, v6, v70                                // 0000000034F0: D1CB0046 051A0D0A
	v_fma_f32 v71, v11, v6, v71                                // 0000000034F8: D1CB0047 051E0D0B
	v_mul_f32_dpp v4, v24, v32 row_newbcast:2 row_mask:0xf bank_mask:0xf// 000000003500: 0A0840FA FF015218
	v_mfma_f32_16x16x32_fp8_fp8 v[8:11], a[64:65], a[0:1], 0   // 000000003508: D3F30008 1A020140
	v_mfma_f32_16x16x32_fp8_fp8 v[8:11], a[66:67], a[2:3], v[8:11]// 000000003510: D3F30008 1C220542
	buffer_load_dwordx4 a[176:179], v44, s[24:27], 0 offen     // 000000003518: E05C1000 8086B02C
	v_mfma_f32_16x16x32_fp8_fp8 v[8:11], a[68:69], a[4:5], v[8:11]// 000000003520: D3F30008 1C220944
	v_mfma_f32_16x16x32_fp8_fp8 v[8:11], a[70:71], a[6:7], v[8:11]// 000000003528: D3F30008 1C220D46
	v_fma_f32 v76, v12, v6, v76                                // 000000003530: D1CB004C 05320D0C
	v_fma_f32 v77, v13, v6, v77                                // 000000003538: D1CB004D 05360D0D
	v_fma_f32 v78, v14, v6, v78                                // 000000003540: D1CB004E 053A0D0E
	v_fma_f32 v79, v15, v6, v79                                // 000000003548: D1CB004F 053E0D0F
	v_mfma_f32_16x16x32_fp8_fp8 v[12:15], a[72:73], a[0:1], 0  // 000000003550: D3F3000C 1A020148
	v_mfma_f32_16x16x32_fp8_fp8 v[12:15], a[74:75], a[2:3], v[12:15]// 000000003558: D3F3000C 1C32054A
	buffer_load_dwordx4 a[180:183], v44, s[24:27], 0 offen offset:1024// 000000003560: E05C1400 8086B42C
	v_mfma_f32_16x16x32_fp8_fp8 v[12:15], a[76:77], a[4:5], v[12:15]// 000000003568: D3F3000C 1C32094C
	v_mfma_f32_16x16x32_fp8_fp8 v[12:15], a[78:79], a[6:7], v[12:15]// 000000003570: D3F3000C 1C320D4E
	v_fma_f32 v84, v8, v4, v84                                 // 000000003578: D1CB0054 05520908
	v_fma_f32 v85, v9, v4, v85                                 // 000000003580: D1CB0055 05560909
	v_fma_f32 v86, v10, v4, v86                                // 000000003588: D1CB0056 055A090A
	v_fma_f32 v87, v11, v4, v87                                // 000000003590: D1CB0057 055E090B
	v_mul_f32_dpp v6, v24, v32 row_newbcast:3 row_mask:0xf bank_mask:0xf// 000000003598: 0A0C40FA FF015318
	v_mfma_f32_16x16x32_fp8_fp8 v[8:11], a[80:81], a[0:1], 0   // 0000000035A0: D3F30008 1A020150
	v_mfma_f32_16x16x32_fp8_fp8 v[8:11], a[82:83], a[2:3], v[8:11]// 0000000035A8: D3F30008 1C220552
	buffer_load_dwordx4 a[184:187], v45, s[24:27], 0 offen     // 0000000035B0: E05C1000 8086B82D
	v_mfma_f32_16x16x32_fp8_fp8 v[8:11], a[84:85], a[4:5], v[8:11]// 0000000035B8: D3F30008 1C220954
	v_mfma_f32_16x16x32_fp8_fp8 v[8:11], a[86:87], a[6:7], v[8:11]// 0000000035C0: D3F30008 1C220D56
	v_fma_f32 v92, v12, v4, v92                                // 0000000035C8: D1CB005C 0572090C
	v_fma_f32 v93, v13, v4, v93                                // 0000000035D0: D1CB005D 0576090D
	v_fma_f32 v94, v14, v4, v94                                // 0000000035D8: D1CB005E 057A090E
	v_fma_f32 v95, v15, v4, v95                                // 0000000035E0: D1CB005F 057E090F
	v_mfma_f32_16x16x32_fp8_fp8 v[12:15], a[88:89], a[0:1], 0  // 0000000035E8: D3F3000C 1A020158
	v_mfma_f32_16x16x32_fp8_fp8 v[12:15], a[90:91], a[2:3], v[12:15]// 0000000035F0: D3F3000C 1C32055A
	buffer_load_dwordx4 a[188:191], v45, s[24:27], 0 offen offset:1024// 0000000035F8: E05C1400 8086BC2D
	v_mfma_f32_16x16x32_fp8_fp8 v[12:15], a[92:93], a[4:5], v[12:15]// 000000003600: D3F3000C 1C32095C
	v_mfma_f32_16x16x32_fp8_fp8 v[12:15], a[94:95], a[6:7], v[12:15]// 000000003608: D3F3000C 1C320D5E
	v_fma_f32 v100, v8, v6, v100                               // 000000003610: D1CB0064 05920D08
	v_fma_f32 v101, v9, v6, v101                               // 000000003618: D1CB0065 05960D09
	v_fma_f32 v102, v10, v6, v102                              // 000000003620: D1CB0066 059A0D0A
	v_fma_f32 v103, v11, v6, v103                              // 000000003628: D1CB0067 059E0D0B
	v_mul_f32_dpp v4, v24, v33 row_newbcast:0 row_mask:0xf bank_mask:0xf// 000000003630: 0A0842FA FF015018
	v_mfma_f32_16x16x32_fp8_fp8 v[8:11], a[32:33], a[8:9], 0   // 000000003638: D3F30008 1A021120
	v_mfma_f32_16x16x32_fp8_fp8 v[8:11], a[34:35], a[10:11], v[8:11]// 000000003640: D3F30008 1C221522
	buffer_load_dwordx4 a[192:195], v46, s[24:27], 0 offen     // 000000003648: E05C1000 8086C02E
	v_mfma_f32_16x16x32_fp8_fp8 v[8:11], a[36:37], a[12:13], v[8:11]// 000000003650: D3F30008 1C221924
	v_mfma_f32_16x16x32_fp8_fp8 v[8:11], a[38:39], a[14:15], v[8:11]// 000000003658: D3F30008 1C221D26
	v_fma_f32 v108, v12, v6, v108                              // 000000003660: D1CB006C 05B20D0C
	v_fma_f32 v109, v13, v6, v109                              // 000000003668: D1CB006D 05B60D0D
	v_fma_f32 v110, v14, v6, v110                              // 000000003670: D1CB006E 05BA0D0E
	v_fma_f32 v111, v15, v6, v111                              // 000000003678: D1CB006F 05BE0D0F
	v_mfma_f32_16x16x32_fp8_fp8 v[12:15], a[40:41], a[8:9], 0  // 000000003680: D3F3000C 1A021128
	v_mfma_f32_16x16x32_fp8_fp8 v[12:15], a[42:43], a[10:11], v[12:15]// 000000003688: D3F3000C 1C32152A
	buffer_load_dwordx4 a[196:199], v46, s[24:27], 0 offen offset:1024// 000000003690: E05C1400 8086C42E
	v_mfma_f32_16x16x32_fp8_fp8 v[12:15], a[44:45], a[12:13], v[12:15]// 000000003698: D3F3000C 1C32192C
	v_mfma_f32_16x16x32_fp8_fp8 v[12:15], a[46:47], a[14:15], v[12:15]// 0000000036A0: D3F3000C 1C321D2E
	v_fma_f32 v56, v8, v4, v56                                 // 0000000036A8: D1CB0038 04E20908
	v_fma_f32 v57, v9, v4, v57                                 // 0000000036B0: D1CB0039 04E60909
	v_fma_f32 v58, v10, v4, v58                                // 0000000036B8: D1CB003A 04EA090A
	v_fma_f32 v59, v11, v4, v59                                // 0000000036C0: D1CB003B 04EE090B
	v_mul_f32_dpp v6, v24, v33 row_newbcast:1 row_mask:0xf bank_mask:0xf// 0000000036C8: 0A0C42FA FF015118
	v_mfma_f32_16x16x32_fp8_fp8 v[8:11], a[48:49], a[8:9], 0   // 0000000036D0: D3F30008 1A021130
	v_mfma_f32_16x16x32_fp8_fp8 v[8:11], a[50:51], a[10:11], v[8:11]// 0000000036D8: D3F30008 1C221532
	buffer_load_dwordx4 a[200:203], v47, s[24:27], 0 offen     // 0000000036E0: E05C1000 8086C82F
	v_mfma_f32_16x16x32_fp8_fp8 v[8:11], a[52:53], a[12:13], v[8:11]// 0000000036E8: D3F30008 1C221934
	v_mfma_f32_16x16x32_fp8_fp8 v[8:11], a[54:55], a[14:15], v[8:11]// 0000000036F0: D3F30008 1C221D36
	v_fma_f32 v64, v12, v4, v64                                // 0000000036F8: D1CB0040 0502090C
	v_fma_f32 v65, v13, v4, v65                                // 000000003700: D1CB0041 0506090D
	v_fma_f32 v66, v14, v4, v66                                // 000000003708: D1CB0042 050A090E
	v_fma_f32 v67, v15, v4, v67                                // 000000003710: D1CB0043 050E090F
	v_mfma_f32_16x16x32_fp8_fp8 v[12:15], a[56:57], a[8:9], 0  // 000000003718: D3F3000C 1A021138
	v_mfma_f32_16x16x32_fp8_fp8 v[12:15], a[58:59], a[10:11], v[12:15]// 000000003720: D3F3000C 1C32153A
	buffer_load_dwordx4 a[204:207], v47, s[24:27], 0 offen offset:1024// 000000003728: E05C1400 8086CC2F
	v_mfma_f32_16x16x32_fp8_fp8 v[12:15], a[60:61], a[12:13], v[12:15]// 000000003730: D3F3000C 1C32193C
	v_mfma_f32_16x16x32_fp8_fp8 v[12:15], a[62:63], a[14:15], v[12:15]// 000000003738: D3F3000C 1C321D3E
	v_fma_f32 v72, v8, v6, v72                                 // 000000003740: D1CB0048 05220D08
	v_fma_f32 v73, v9, v6, v73                                 // 000000003748: D1CB0049 05260D09
	v_fma_f32 v74, v10, v6, v74                                // 000000003750: D1CB004A 052A0D0A
	v_fma_f32 v75, v11, v6, v75                                // 000000003758: D1CB004B 052E0D0B
	v_mul_f32_dpp v4, v24, v33 row_newbcast:2 row_mask:0xf bank_mask:0xf// 000000003760: 0A0842FA FF015218
	v_mfma_f32_16x16x32_fp8_fp8 v[8:11], a[64:65], a[8:9], 0   // 000000003768: D3F30008 1A021140
	v_mfma_f32_16x16x32_fp8_fp8 v[8:11], a[66:67], a[10:11], v[8:11]// 000000003770: D3F30008 1C221542
	buffer_load_dwordx4 a[208:211], v48, s[24:27], 0 offen     // 000000003778: E05C1000 8086D030
	v_mfma_f32_16x16x32_fp8_fp8 v[8:11], a[68:69], a[12:13], v[8:11]// 000000003780: D3F30008 1C221944
	v_mfma_f32_16x16x32_fp8_fp8 v[8:11], a[70:71], a[14:15], v[8:11]// 000000003788: D3F30008 1C221D46
	v_fma_f32 v80, v12, v6, v80                                // 000000003790: D1CB0050 05420D0C
	v_fma_f32 v81, v13, v6, v81                                // 000000003798: D1CB0051 05460D0D
	v_fma_f32 v82, v14, v6, v82                                // 0000000037A0: D1CB0052 054A0D0E
	v_fma_f32 v83, v15, v6, v83                                // 0000000037A8: D1CB0053 054E0D0F
	v_mfma_f32_16x16x32_fp8_fp8 v[12:15], a[72:73], a[8:9], 0  // 0000000037B0: D3F3000C 1A021148
	v_mfma_f32_16x16x32_fp8_fp8 v[12:15], a[74:75], a[10:11], v[12:15]// 0000000037B8: D3F3000C 1C32154A
	buffer_load_dwordx4 a[212:215], v48, s[24:27], 0 offen offset:1024// 0000000037C0: E05C1400 8086D430
	v_mfma_f32_16x16x32_fp8_fp8 v[12:15], a[76:77], a[12:13], v[12:15]// 0000000037C8: D3F3000C 1C32194C
	v_mfma_f32_16x16x32_fp8_fp8 v[12:15], a[78:79], a[14:15], v[12:15]// 0000000037D0: D3F3000C 1C321D4E
	v_fma_f32 v88, v8, v4, v88                                 // 0000000037D8: D1CB0058 05620908
	v_fma_f32 v89, v9, v4, v89                                 // 0000000037E0: D1CB0059 05660909
	v_fma_f32 v90, v10, v4, v90                                // 0000000037E8: D1CB005A 056A090A
	v_fma_f32 v91, v11, v4, v91                                // 0000000037F0: D1CB005B 056E090B
	v_mul_f32_dpp v6, v24, v33 row_newbcast:3 row_mask:0xf bank_mask:0xf// 0000000037F8: 0A0C42FA FF015318
	v_mfma_f32_16x16x32_fp8_fp8 v[8:11], a[80:81], a[8:9], 0   // 000000003800: D3F30008 1A021150
	v_mfma_f32_16x16x32_fp8_fp8 v[8:11], a[82:83], a[10:11], v[8:11]// 000000003808: D3F30008 1C221552
	buffer_load_dwordx4 a[216:219], v49, s[24:27], 0 offen     // 000000003810: E05C1000 8086D831
	v_mfma_f32_16x16x32_fp8_fp8 v[8:11], a[84:85], a[12:13], v[8:11]// 000000003818: D3F30008 1C221954
	v_mfma_f32_16x16x32_fp8_fp8 v[8:11], a[86:87], a[14:15], v[8:11]// 000000003820: D3F30008 1C221D56
	v_fma_f32 v96, v12, v4, v96                                // 000000003828: D1CB0060 0582090C
	v_fma_f32 v97, v13, v4, v97                                // 000000003830: D1CB0061 0586090D
	v_fma_f32 v98, v14, v4, v98                                // 000000003838: D1CB0062 058A090E
	v_fma_f32 v99, v15, v4, v99                                // 000000003840: D1CB0063 058E090F
	v_mfma_f32_16x16x32_fp8_fp8 v[12:15], a[88:89], a[8:9], 0  // 000000003848: D3F3000C 1A021158
	v_mfma_f32_16x16x32_fp8_fp8 v[12:15], a[90:91], a[10:11], v[12:15]// 000000003850: D3F3000C 1C32155A
	buffer_load_dwordx4 a[220:223], v49, s[24:27], 0 offen offset:1024// 000000003858: E05C1400 8086DC31
	buffer_load_dword v38, s[20:23], 0 offen lds               // 000000003860: E0511000 80050026
	s_add_u32 m0, 0x100, s50                                   // 000000003868: 807C32FF 00000100
	v_mfma_f32_16x16x32_fp8_fp8 v[12:15], a[92:93], a[12:13], v[12:15]// 000000003870: D3F3000C 1C32195C
	v_mfma_f32_16x16x32_fp8_fp8 v[12:15], a[94:95], a[14:15], v[12:15]// 000000003878: D3F3000C 1C321D5E
	buffer_load_dword v39, s[20:23], 0 offen lds               // 000000003880: E0511000 80050027
	s_add_u32 m0, 0x200, s50                                   // 000000003888: 807C32FF 00000200
	v_fma_f32 v104, v8, v6, v104                               // 000000003890: D1CB0068 05A20D08
	v_fma_f32 v105, v9, v6, v105                               // 000000003898: D1CB0069 05A60D09
	v_fma_f32 v106, v10, v6, v106                              // 0000000038A0: D1CB006A 05AA0D0A
	v_fma_f32 v107, v11, v6, v107                              // 0000000038A8: D1CB006B 05AE0D0B
	v_fma_f32 v112, v12, v6, v112                              // 0000000038B0: D1CB0070 05C20D0C
	v_fma_f32 v113, v13, v6, v113                              // 0000000038B8: D1CB0071 05C60D0D
	v_fma_f32 v114, v14, v6, v114                              // 0000000038C0: D1CB0072 05CA0D0E
	v_fma_f32 v115, v15, v6, v115                              // 0000000038C8: D1CB0073 05CE0D0F
	buffer_load_dword v40, s[20:23], 0 offen lds               // 0000000038D0: E0511000 80050028
	s_add_u32 m0, 0x300, s50                                   // 0000000038D8: 807C32FF 00000300
	buffer_load_dword v41, s[20:23], 0 offen lds               // 0000000038E0: E0511000 80050029
	s_add_u32 m0, 0, s48                                       // 0000000038E8: 807C3080
	buffer_load_dword v36, v30, s[28:31], 0 offen              // 0000000038EC: E0501000 8007241E
	buffer_load_dword v37, v31, s[28:31], 0 offen              // 0000000038F4: E0501000 8007251F
	s_waitcnt vmcnt(23)                                        // 0000000038FC: BF8C4F77
	s_barrier                                                  // 000000003900: BF8A0000
	v_mul_f32_dpp v4, v27, v32 row_newbcast:0 row_mask:0xf bank_mask:0xf// 000000003904: 0A0840FA FF01501B
	v_mfma_f32_16x16x32_fp8_fp8 v[8:11], a[96:97], a[0:1], 0   // 00000000390C: D3F30008 1A020160
	buffer_load_dword v28, v23, s[32:35], 0 offen              // 000000003914: E0501000 80081C17
	v_mfma_f32_16x16x32_fp8_fp8 v[8:11], a[98:99], a[2:3], v[8:11]// 00000000391C: D3F30008 1C220562
	buffer_load_dwordx4 a[32:35], v42, s[84:87], 0 offen       // 000000003924: E05C1000 8095202A
	v_mfma_f32_16x16x32_fp8_fp8 v[8:11], a[100:101], a[4:5], v[8:11]// 00000000392C: D3F30008 1C220964
	v_mfma_f32_16x16x32_fp8_fp8 v[8:11], a[102:103], a[6:7], v[8:11]// 000000003934: D3F30008 1C220D66
	ds_read_b128 a[16:19], v2 offset:4224                      // 00000000393C: DBFE1080 10000002
	ds_read_b128 a[20:23], v2 offset:4288                      // 000000003944: DBFE10C0 14000002
	v_mfma_f32_16x16x32_fp8_fp8 v[12:15], a[104:105], a[0:1], 0// 00000000394C: D3F3000C 1A020168
	v_mfma_f32_16x16x32_fp8_fp8 v[12:15], a[106:107], a[2:3], v[12:15]// 000000003954: D3F3000C 1C32056A
	buffer_load_dwordx4 a[36:39], v42, s[84:87], 0 offen offset:1024// 00000000395C: E05C1400 8095242A
	v_mfma_f32_16x16x32_fp8_fp8 v[12:15], a[108:109], a[4:5], v[12:15]// 000000003964: D3F3000C 1C32096C
	v_mfma_f32_16x16x32_fp8_fp8 v[12:15], a[110:111], a[6:7], v[12:15]// 00000000396C: D3F3000C 1C320D6E
	ds_read_b128 a[24:27], v2 offset:4736                      // 000000003974: DBFE1280 18000002
	ds_read_b128 a[28:31], v2 offset:4800                      // 00000000397C: DBFE12C0 1C000002
	v_fma_f32 v116, v8, v4, v116                               // 000000003984: D1CB0074 05D20908
	v_fma_f32 v117, v9, v4, v117                               // 00000000398C: D1CB0075 05D60909
	v_fma_f32 v118, v10, v4, v118                              // 000000003994: D1CB0076 05DA090A
	v_fma_f32 v119, v11, v4, v119                              // 00000000399C: D1CB0077 05DE090B
	v_mul_f32_dpp v6, v27, v32 row_newbcast:1 row_mask:0xf bank_mask:0xf// 0000000039A4: 0A0C40FA FF01511B
	v_mfma_f32_16x16x32_fp8_fp8 v[8:11], a[112:113], a[0:1], 0 // 0000000039AC: D3F30008 1A020170
	v_mfma_f32_16x16x32_fp8_fp8 v[8:11], a[114:115], a[2:3], v[8:11]// 0000000039B4: D3F30008 1C220572
	buffer_load_dwordx4 a[40:43], v43, s[84:87], 0 offen       // 0000000039BC: E05C1000 8095282B
	v_mfma_f32_16x16x32_fp8_fp8 v[8:11], a[116:117], a[4:5], v[8:11]// 0000000039C4: D3F30008 1C220974
	v_mfma_f32_16x16x32_fp8_fp8 v[8:11], a[118:119], a[6:7], v[8:11]// 0000000039CC: D3F30008 1C220D76
	v_fma_f32 v124, v12, v4, v124                              // 0000000039D4: D1CB007C 05F2090C
	v_fma_f32 v125, v13, v4, v125                              // 0000000039DC: D1CB007D 05F6090D
	v_fma_f32 v126, v14, v4, v126                              // 0000000039E4: D1CB007E 05FA090E
	v_fma_f32 v127, v15, v4, v127                              // 0000000039EC: D1CB007F 05FE090F
	v_mfma_f32_16x16x32_fp8_fp8 v[12:15], a[120:121], a[0:1], 0// 0000000039F4: D3F3000C 1A020178
	v_mfma_f32_16x16x32_fp8_fp8 v[12:15], a[122:123], a[2:3], v[12:15]// 0000000039FC: D3F3000C 1C32057A
	buffer_load_dwordx4 a[44:47], v43, s[84:87], 0 offen offset:1024// 000000003A04: E05C1400 80952C2B
	v_mfma_f32_16x16x32_fp8_fp8 v[12:15], a[124:125], a[4:5], v[12:15]// 000000003A0C: D3F3000C 1C32097C
	v_mfma_f32_16x16x32_fp8_fp8 v[12:15], a[126:127], a[6:7], v[12:15]// 000000003A14: D3F3000C 1C320D7E
	v_fma_f32 v132, v8, v6, v132                               // 000000003A1C: D1CB0084 06120D08
	v_fma_f32 v133, v9, v6, v133                               // 000000003A24: D1CB0085 06160D09
	v_fma_f32 v134, v10, v6, v134                              // 000000003A2C: D1CB0086 061A0D0A
	v_fma_f32 v135, v11, v6, v135                              // 000000003A34: D1CB0087 061E0D0B
	v_mul_f32_dpp v4, v27, v32 row_newbcast:2 row_mask:0xf bank_mask:0xf// 000000003A3C: 0A0840FA FF01521B
	v_mfma_f32_16x16x32_fp8_fp8 v[8:11], a[128:129], a[0:1], 0 // 000000003A44: D3F30008 1A020180
	v_mfma_f32_16x16x32_fp8_fp8 v[8:11], a[130:131], a[2:3], v[8:11]// 000000003A4C: D3F30008 1C220582
	buffer_load_dwordx4 a[48:51], v44, s[84:87], 0 offen       // 000000003A54: E05C1000 8095302C
	v_mfma_f32_16x16x32_fp8_fp8 v[8:11], a[132:133], a[4:5], v[8:11]// 000000003A5C: D3F30008 1C220984
	v_mfma_f32_16x16x32_fp8_fp8 v[8:11], a[134:135], a[6:7], v[8:11]// 000000003A64: D3F30008 1C220D86
	v_fma_f32 v140, v12, v6, v140                              // 000000003A6C: D1CB008C 06320D0C
	v_fma_f32 v141, v13, v6, v141                              // 000000003A74: D1CB008D 06360D0D
	v_fma_f32 v142, v14, v6, v142                              // 000000003A7C: D1CB008E 063A0D0E
	v_fma_f32 v143, v15, v6, v143                              // 000000003A84: D1CB008F 063E0D0F
	v_mfma_f32_16x16x32_fp8_fp8 v[12:15], a[136:137], a[0:1], 0// 000000003A8C: D3F3000C 1A020188
	v_mfma_f32_16x16x32_fp8_fp8 v[12:15], a[138:139], a[2:3], v[12:15]// 000000003A94: D3F3000C 1C32058A
	buffer_load_dwordx4 a[52:55], v44, s[84:87], 0 offen offset:1024// 000000003A9C: E05C1400 8095342C
	v_mfma_f32_16x16x32_fp8_fp8 v[12:15], a[140:141], a[4:5], v[12:15]// 000000003AA4: D3F3000C 1C32098C
	v_mfma_f32_16x16x32_fp8_fp8 v[12:15], a[142:143], a[6:7], v[12:15]// 000000003AAC: D3F3000C 1C320D8E
	v_fma_f32 v148, v8, v4, v148                               // 000000003AB4: D1CB0094 06520908
	v_fma_f32 v149, v9, v4, v149                               // 000000003ABC: D1CB0095 06560909
	v_fma_f32 v150, v10, v4, v150                              // 000000003AC4: D1CB0096 065A090A
	v_fma_f32 v151, v11, v4, v151                              // 000000003ACC: D1CB0097 065E090B
	v_mul_f32_dpp v6, v27, v32 row_newbcast:3 row_mask:0xf bank_mask:0xf// 000000003AD4: 0A0C40FA FF01531B
	v_mfma_f32_16x16x32_fp8_fp8 v[8:11], a[144:145], a[0:1], 0 // 000000003ADC: D3F30008 1A020190
	v_mfma_f32_16x16x32_fp8_fp8 v[8:11], a[146:147], a[2:3], v[8:11]// 000000003AE4: D3F30008 1C220592
	buffer_load_dwordx4 a[56:59], v45, s[84:87], 0 offen       // 000000003AEC: E05C1000 8095382D
	v_mfma_f32_16x16x32_fp8_fp8 v[8:11], a[148:149], a[4:5], v[8:11]// 000000003AF4: D3F30008 1C220994
	v_mfma_f32_16x16x32_fp8_fp8 v[8:11], a[150:151], a[6:7], v[8:11]// 000000003AFC: D3F30008 1C220D96
	v_fma_f32 v156, v12, v4, v156                              // 000000003B04: D1CB009C 0672090C
	v_fma_f32 v157, v13, v4, v157                              // 000000003B0C: D1CB009D 0676090D
	v_fma_f32 v158, v14, v4, v158                              // 000000003B14: D1CB009E 067A090E
	v_fma_f32 v159, v15, v4, v159                              // 000000003B1C: D1CB009F 067E090F
	v_mfma_f32_16x16x32_fp8_fp8 v[12:15], a[152:153], a[0:1], 0// 000000003B24: D3F3000C 1A020198
	v_mfma_f32_16x16x32_fp8_fp8 v[12:15], a[154:155], a[2:3], v[12:15]// 000000003B2C: D3F3000C 1C32059A
	buffer_load_dwordx4 a[60:63], v45, s[84:87], 0 offen offset:1024// 000000003B34: E05C1400 80953C2D
	v_mfma_f32_16x16x32_fp8_fp8 v[12:15], a[156:157], a[4:5], v[12:15]// 000000003B3C: D3F3000C 1C32099C
	v_mfma_f32_16x16x32_fp8_fp8 v[12:15], a[158:159], a[6:7], v[12:15]// 000000003B44: D3F3000C 1C320D9E
	v_fma_f32 v164, v8, v6, v164                               // 000000003B4C: D1CB00A4 06920D08
	v_fma_f32 v165, v9, v6, v165                               // 000000003B54: D1CB00A5 06960D09
	v_fma_f32 v166, v10, v6, v166                              // 000000003B5C: D1CB00A6 069A0D0A
	v_fma_f32 v167, v11, v6, v167                              // 000000003B64: D1CB00A7 069E0D0B
	v_mul_f32_dpp v4, v27, v33 row_newbcast:0 row_mask:0xf bank_mask:0xf// 000000003B6C: 0A0842FA FF01501B
	v_mfma_f32_16x16x32_fp8_fp8 v[8:11], a[96:97], a[8:9], 0   // 000000003B74: D3F30008 1A021160
	v_mfma_f32_16x16x32_fp8_fp8 v[8:11], a[98:99], a[10:11], v[8:11]// 000000003B7C: D3F30008 1C221562
	buffer_load_dwordx4 a[64:67], v46, s[84:87], 0 offen       // 000000003B84: E05C1000 8095402E
	v_mfma_f32_16x16x32_fp8_fp8 v[8:11], a[100:101], a[12:13], v[8:11]// 000000003B8C: D3F30008 1C221964
	v_mfma_f32_16x16x32_fp8_fp8 v[8:11], a[102:103], a[14:15], v[8:11]// 000000003B94: D3F30008 1C221D66
	v_fma_f32 v172, v12, v6, v172                              // 000000003B9C: D1CB00AC 06B20D0C
	v_fma_f32 v173, v13, v6, v173                              // 000000003BA4: D1CB00AD 06B60D0D
	v_fma_f32 v174, v14, v6, v174                              // 000000003BAC: D1CB00AE 06BA0D0E
	v_fma_f32 v175, v15, v6, v175                              // 000000003BB4: D1CB00AF 06BE0D0F
	v_mfma_f32_16x16x32_fp8_fp8 v[12:15], a[104:105], a[8:9], 0// 000000003BBC: D3F3000C 1A021168
	v_mfma_f32_16x16x32_fp8_fp8 v[12:15], a[106:107], a[10:11], v[12:15]// 000000003BC4: D3F3000C 1C32156A
	buffer_load_dwordx4 a[68:71], v46, s[84:87], 0 offen offset:1024// 000000003BCC: E05C1400 8095442E
	v_mfma_f32_16x16x32_fp8_fp8 v[12:15], a[108:109], a[12:13], v[12:15]// 000000003BD4: D3F3000C 1C32196C
	v_mfma_f32_16x16x32_fp8_fp8 v[12:15], a[110:111], a[14:15], v[12:15]// 000000003BDC: D3F3000C 1C321D6E
	v_fma_f32 v120, v8, v4, v120                               // 000000003BE4: D1CB0078 05E20908
	v_fma_f32 v121, v9, v4, v121                               // 000000003BEC: D1CB0079 05E60909
	v_fma_f32 v122, v10, v4, v122                              // 000000003BF4: D1CB007A 05EA090A
	v_fma_f32 v123, v11, v4, v123                              // 000000003BFC: D1CB007B 05EE090B
	v_mul_f32_dpp v6, v27, v33 row_newbcast:1 row_mask:0xf bank_mask:0xf// 000000003C04: 0A0C42FA FF01511B
	v_mfma_f32_16x16x32_fp8_fp8 v[8:11], a[112:113], a[8:9], 0 // 000000003C0C: D3F30008 1A021170
	v_mfma_f32_16x16x32_fp8_fp8 v[8:11], a[114:115], a[10:11], v[8:11]// 000000003C14: D3F30008 1C221572
	buffer_load_dwordx4 a[72:75], v47, s[84:87], 0 offen       // 000000003C1C: E05C1000 8095482F
	v_mfma_f32_16x16x32_fp8_fp8 v[8:11], a[116:117], a[12:13], v[8:11]// 000000003C24: D3F30008 1C221974
	v_mfma_f32_16x16x32_fp8_fp8 v[8:11], a[118:119], a[14:15], v[8:11]// 000000003C2C: D3F30008 1C221D76
	v_fma_f32 v128, v12, v4, v128                              // 000000003C34: D1CB0080 0602090C
	v_fma_f32 v129, v13, v4, v129                              // 000000003C3C: D1CB0081 0606090D
	v_fma_f32 v130, v14, v4, v130                              // 000000003C44: D1CB0082 060A090E
	v_fma_f32 v131, v15, v4, v131                              // 000000003C4C: D1CB0083 060E090F
	v_mfma_f32_16x16x32_fp8_fp8 v[12:15], a[120:121], a[8:9], 0// 000000003C54: D3F3000C 1A021178
	v_mfma_f32_16x16x32_fp8_fp8 v[12:15], a[122:123], a[10:11], v[12:15]// 000000003C5C: D3F3000C 1C32157A
	buffer_load_dwordx4 a[76:79], v47, s[84:87], 0 offen offset:1024// 000000003C64: E05C1400 80954C2F
	v_mfma_f32_16x16x32_fp8_fp8 v[12:15], a[124:125], a[12:13], v[12:15]// 000000003C6C: D3F3000C 1C32197C
	v_mfma_f32_16x16x32_fp8_fp8 v[12:15], a[126:127], a[14:15], v[12:15]// 000000003C74: D3F3000C 1C321D7E
	v_fma_f32 v136, v8, v6, v136                               // 000000003C7C: D1CB0088 06220D08
	v_fma_f32 v137, v9, v6, v137                               // 000000003C84: D1CB0089 06260D09
	v_fma_f32 v138, v10, v6, v138                              // 000000003C8C: D1CB008A 062A0D0A
	v_fma_f32 v139, v11, v6, v139                              // 000000003C94: D1CB008B 062E0D0B
	v_mul_f32_dpp v4, v27, v33 row_newbcast:2 row_mask:0xf bank_mask:0xf// 000000003C9C: 0A0842FA FF01521B
	v_mfma_f32_16x16x32_fp8_fp8 v[8:11], a[128:129], a[8:9], 0 // 000000003CA4: D3F30008 1A021180
	v_mfma_f32_16x16x32_fp8_fp8 v[8:11], a[130:131], a[10:11], v[8:11]// 000000003CAC: D3F30008 1C221582
	buffer_load_dwordx4 a[80:83], v48, s[84:87], 0 offen       // 000000003CB4: E05C1000 80955030
	v_mfma_f32_16x16x32_fp8_fp8 v[8:11], a[132:133], a[12:13], v[8:11]// 000000003CBC: D3F30008 1C221984
	v_mfma_f32_16x16x32_fp8_fp8 v[8:11], a[134:135], a[14:15], v[8:11]// 000000003CC4: D3F30008 1C221D86
	v_fma_f32 v144, v12, v6, v144                              // 000000003CCC: D1CB0090 06420D0C
	v_fma_f32 v145, v13, v6, v145                              // 000000003CD4: D1CB0091 06460D0D
	v_fma_f32 v146, v14, v6, v146                              // 000000003CDC: D1CB0092 064A0D0E
	v_fma_f32 v147, v15, v6, v147                              // 000000003CE4: D1CB0093 064E0D0F
	v_mfma_f32_16x16x32_fp8_fp8 v[12:15], a[136:137], a[8:9], 0// 000000003CEC: D3F3000C 1A021188
	v_mfma_f32_16x16x32_fp8_fp8 v[12:15], a[138:139], a[10:11], v[12:15]// 000000003CF4: D3F3000C 1C32158A
	buffer_load_dwordx4 a[84:87], v48, s[84:87], 0 offen offset:1024// 000000003CFC: E05C1400 80955430
	v_mfma_f32_16x16x32_fp8_fp8 v[12:15], a[140:141], a[12:13], v[12:15]// 000000003D04: D3F3000C 1C32198C
	v_mfma_f32_16x16x32_fp8_fp8 v[12:15], a[142:143], a[14:15], v[12:15]// 000000003D0C: D3F3000C 1C321D8E
	v_fma_f32 v152, v8, v4, v152                               // 000000003D14: D1CB0098 06620908
	v_fma_f32 v153, v9, v4, v153                               // 000000003D1C: D1CB0099 06660909
	v_fma_f32 v154, v10, v4, v154                              // 000000003D24: D1CB009A 066A090A
	v_fma_f32 v155, v11, v4, v155                              // 000000003D2C: D1CB009B 066E090B
	v_mul_f32_dpp v6, v27, v33 row_newbcast:3 row_mask:0xf bank_mask:0xf// 000000003D34: 0A0C42FA FF01531B
	v_mfma_f32_16x16x32_fp8_fp8 v[8:11], a[144:145], a[8:9], 0 // 000000003D3C: D3F30008 1A021190
	s_add_u32 s60, 0x180, s80                                  // 000000003D44: 803C50FF 00000180
	s_cmp_lt_u32 s60, s81                                      // 000000003D4C: BF0A513C
	s_cselect_b32 s57, s57, 0                                  // 000000003D50: 85398039
	s_cselect_b32 s3, s3, 0                                    // 000000003D54: 85038003
	v_mfma_f32_16x16x32_fp8_fp8 v[8:11], a[146:147], a[10:11], v[8:11]// 000000003D58: D3F30008 1C221592
	buffer_load_dwordx4 a[88:91], v49, s[84:87], 0 offen       // 000000003D60: E05C1000 80955831
	s_add_u32 s60, 0x100, s80                                  // 000000003D68: 803C50FF 00000100
	s_cmp_lt_u32 s60, s81                                      // 000000003D70: BF0A513C
	s_cselect_b32 s58, s58, 0                                  // 000000003D74: 853A803A
	v_mfma_f32_16x16x32_fp8_fp8 v[8:11], a[148:149], a[12:13], v[8:11]// 000000003D78: D3F30008 1C221994
	s_add_u32 s60, 0x100, s80                                  // 000000003D80: 803C50FF 00000100
	s_cmp_lt_u32 s60, s81                                      // 000000003D88: BF0A513C
	s_cselect_b32 s83, s83, 0                                  // 000000003D8C: 85538053
	s_cselect_b32 s4, s4, 0                                    // 000000003D90: 85048004
	v_mfma_f32_16x16x32_fp8_fp8 v[8:11], a[150:151], a[14:15], v[8:11]// 000000003D94: D3F30008 1C221D96
	s_add_u32 s24, s58, s24                                    // 000000003D9C: 8018183A
	s_addc_u32 s25, 0, s25                                     // 000000003DA0: 82191980
	v_fma_f32 v160, v12, v4, v160                              // 000000003DA4: D1CB00A0 0682090C
	v_fma_f32 v161, v13, v4, v161                              // 000000003DAC: D1CB00A1 0686090D
	v_fma_f32 v162, v14, v4, v162                              // 000000003DB4: D1CB00A2 068A090E
	v_fma_f32 v163, v15, v4, v163                              // 000000003DBC: D1CB00A3 068E090F
	v_mfma_f32_16x16x32_fp8_fp8 v[12:15], a[152:153], a[8:9], 0// 000000003DC4: D3F3000C 1A021198
	s_add_u32 s20, s57, s20                                    // 000000003DCC: 80141439
	s_addc_u32 s21, 0, s21                                     // 000000003DD0: 82151580
	s_add_u32 s28, s3, s28                                     // 000000003DD4: 801C1C03
	s_addc_u32 s29, 0, s29                                     // 000000003DD8: 821D1D80
	v_mfma_f32_16x16x32_fp8_fp8 v[12:15], a[154:155], a[10:11], v[12:15]// 000000003DDC: D3F3000C 1C32159A
	buffer_load_dwordx4 a[92:95], v49, s[84:87], 0 offen offset:1024// 000000003DE4: E05C1400 80955C31
	s_add_u32 s84, s83, s84                                    // 000000003DEC: 80545453
	s_addc_u32 s85, 0, s85                                     // 000000003DF0: 82555580
	v_mfma_f32_16x16x32_fp8_fp8 v[12:15], a[156:157], a[12:13], v[12:15]// 000000003DF4: D3F3000C 1C32199C
	s_add_u32 s32, s4, s32                                     // 000000003DFC: 80202004
	s_addc_u32 s33, 0, s33                                     // 000000003E00: 82212180
	v_mfma_f32_16x16x32_fp8_fp8 v[12:15], a[158:159], a[14:15], v[12:15]// 000000003E04: D3F3000C 1C321D9E
	v_fma_f32 v168, v8, v6, v168                               // 000000003E0C: D1CB00A8 06A20D08
	v_fma_f32 v169, v9, v6, v169                               // 000000003E14: D1CB00A9 06A60D09
	v_fma_f32 v170, v10, v6, v170                              // 000000003E1C: D1CB00AA 06AA0D0A
	v_fma_f32 v171, v11, v6, v171                              // 000000003E24: D1CB00AB 06AE0D0B
	v_fma_f32 v176, v12, v6, v176                              // 000000003E2C: D1CB00B0 06C20D0C
	v_fma_f32 v177, v13, v6, v177                              // 000000003E34: D1CB00B1 06C60D0D
	v_fma_f32 v178, v14, v6, v178                              // 000000003E3C: D1CB00B2 06CA0D0E
	v_fma_f32 v179, v15, v6, v179                              // 000000003E44: D1CB00B3 06CE0D0F
	s_addk_i32 s80, 0x80                                       // 000000003E4C: B7500080
	s_cmp_lt_i32 s80, s81                                      // 000000003E50: BF045150
	s_cbranch_scc0 label_1228                                  // 000000003E54: BF840D12
	s_waitcnt vmcnt(23) lgkmcnt(0)                             // 000000003E58: BF8C4077
	v_mul_f32_dpp v4, v25, v34 row_newbcast:0 row_mask:0xf bank_mask:0xf// 000000003E5C: 0A0844FA FF015019
	v_mfma_f32_16x16x32_fp8_fp8 v[8:11], a[160:161], a[16:17], 0// 000000003E64: D3F30008 1A0221A0
	buffer_load_dword v26, v22, s[32:35], 0 offen              // 000000003E6C: E0501000 80081A16
	v_mfma_f32_16x16x32_fp8_fp8 v[8:11], a[162:163], a[18:19], v[8:11]// 000000003E74: D3F30008 1C2225A2
	buffer_load_dwordx4 a[96:99], v42, s[24:27], 0 offen       // 000000003E7C: E05C1000 8086602A
	v_mfma_f32_16x16x32_fp8_fp8 v[8:11], a[164:165], a[20:21], v[8:11]// 000000003E84: D3F30008 1C2229A4
	v_mfma_f32_16x16x32_fp8_fp8 v[8:11], a[166:167], a[22:23], v[8:11]// 000000003E8C: D3F30008 1C222DA6
	v_mfma_f32_16x16x32_fp8_fp8 v[12:15], a[168:169], a[16:17], 0// 000000003E94: D3F3000C 1A0221A8
	v_mfma_f32_16x16x32_fp8_fp8 v[12:15], a[170:171], a[18:19], v[12:15]// 000000003E9C: D3F3000C 1C3225AA
	buffer_load_dwordx4 a[100:103], v42, s[24:27], 0 offen offset:1024// 000000003EA4: E05C1400 8086642A
	v_mfma_f32_16x16x32_fp8_fp8 v[12:15], a[172:173], a[20:21], v[12:15]// 000000003EAC: D3F3000C 1C3229AC
	v_mfma_f32_16x16x32_fp8_fp8 v[12:15], a[174:175], a[22:23], v[12:15]// 000000003EB4: D3F3000C 1C322DAE
	v_fma_f32 v52, v8, v4, v52                                 // 000000003EBC: D1CB0034 04D20908
	v_fma_f32 v53, v9, v4, v53                                 // 000000003EC4: D1CB0035 04D60909
	v_fma_f32 v54, v10, v4, v54                                // 000000003ECC: D1CB0036 04DA090A
	v_fma_f32 v55, v11, v4, v55                                // 000000003ED4: D1CB0037 04DE090B
	v_mul_f32_dpp v6, v25, v34 row_newbcast:1 row_mask:0xf bank_mask:0xf// 000000003EDC: 0A0C44FA FF015119
	v_mfma_f32_16x16x32_fp8_fp8 v[8:11], a[176:177], a[16:17], 0// 000000003EE4: D3F30008 1A0221B0
	v_mfma_f32_16x16x32_fp8_fp8 v[8:11], a[178:179], a[18:19], v[8:11]// 000000003EEC: D3F30008 1C2225B2
	buffer_load_dwordx4 a[104:107], v43, s[24:27], 0 offen     // 000000003EF4: E05C1000 8086682B
	v_mfma_f32_16x16x32_fp8_fp8 v[8:11], a[180:181], a[20:21], v[8:11]// 000000003EFC: D3F30008 1C2229B4
	v_mfma_f32_16x16x32_fp8_fp8 v[8:11], a[182:183], a[22:23], v[8:11]// 000000003F04: D3F30008 1C222DB6
	v_fma_f32 v60, v12, v4, v60                                // 000000003F0C: D1CB003C 04F2090C
	v_fma_f32 v61, v13, v4, v61                                // 000000003F14: D1CB003D 04F6090D
	v_fma_f32 v62, v14, v4, v62                                // 000000003F1C: D1CB003E 04FA090E
	v_fma_f32 v63, v15, v4, v63                                // 000000003F24: D1CB003F 04FE090F
	v_mfma_f32_16x16x32_fp8_fp8 v[12:15], a[184:185], a[16:17], 0// 000000003F2C: D3F3000C 1A0221B8
	v_mfma_f32_16x16x32_fp8_fp8 v[12:15], a[186:187], a[18:19], v[12:15]// 000000003F34: D3F3000C 1C3225BA
	buffer_load_dwordx4 a[108:111], v43, s[24:27], 0 offen offset:1024// 000000003F3C: E05C1400 80866C2B
	v_mfma_f32_16x16x32_fp8_fp8 v[12:15], a[188:189], a[20:21], v[12:15]// 000000003F44: D3F3000C 1C3229BC
	v_mfma_f32_16x16x32_fp8_fp8 v[12:15], a[190:191], a[22:23], v[12:15]// 000000003F4C: D3F3000C 1C322DBE
	v_fma_f32 v68, v8, v6, v68                                 // 000000003F54: D1CB0044 05120D08
	v_fma_f32 v69, v9, v6, v69                                 // 000000003F5C: D1CB0045 05160D09
	v_fma_f32 v70, v10, v6, v70                                // 000000003F64: D1CB0046 051A0D0A
	v_fma_f32 v71, v11, v6, v71                                // 000000003F6C: D1CB0047 051E0D0B
	v_mul_f32_dpp v4, v25, v34 row_newbcast:2 row_mask:0xf bank_mask:0xf// 000000003F74: 0A0844FA FF015219
	v_mfma_f32_16x16x32_fp8_fp8 v[8:11], a[192:193], a[16:17], 0// 000000003F7C: D3F30008 1A0221C0
	v_mfma_f32_16x16x32_fp8_fp8 v[8:11], a[194:195], a[18:19], v[8:11]// 000000003F84: D3F30008 1C2225C2
	buffer_load_dwordx4 a[112:115], v44, s[24:27], 0 offen     // 000000003F8C: E05C1000 8086702C
	v_mfma_f32_16x16x32_fp8_fp8 v[8:11], a[196:197], a[20:21], v[8:11]// 000000003F94: D3F30008 1C2229C4
	v_mfma_f32_16x16x32_fp8_fp8 v[8:11], a[198:199], a[22:23], v[8:11]// 000000003F9C: D3F30008 1C222DC6
	v_fma_f32 v76, v12, v6, v76                                // 000000003FA4: D1CB004C 05320D0C
	v_fma_f32 v77, v13, v6, v77                                // 000000003FAC: D1CB004D 05360D0D
	v_fma_f32 v78, v14, v6, v78                                // 000000003FB4: D1CB004E 053A0D0E
	v_fma_f32 v79, v15, v6, v79                                // 000000003FBC: D1CB004F 053E0D0F
	v_mfma_f32_16x16x32_fp8_fp8 v[12:15], a[200:201], a[16:17], 0// 000000003FC4: D3F3000C 1A0221C8
	v_mfma_f32_16x16x32_fp8_fp8 v[12:15], a[202:203], a[18:19], v[12:15]// 000000003FCC: D3F3000C 1C3225CA
	buffer_load_dwordx4 a[116:119], v44, s[24:27], 0 offen offset:1024// 000000003FD4: E05C1400 8086742C
	v_mfma_f32_16x16x32_fp8_fp8 v[12:15], a[204:205], a[20:21], v[12:15]// 000000003FDC: D3F3000C 1C3229CC
	v_mfma_f32_16x16x32_fp8_fp8 v[12:15], a[206:207], a[22:23], v[12:15]// 000000003FE4: D3F3000C 1C322DCE
	v_fma_f32 v84, v8, v4, v84                                 // 000000003FEC: D1CB0054 05520908
	v_fma_f32 v85, v9, v4, v85                                 // 000000003FF4: D1CB0055 05560909
	v_fma_f32 v86, v10, v4, v86                                // 000000003FFC: D1CB0056 055A090A
	v_fma_f32 v87, v11, v4, v87                                // 000000004004: D1CB0057 055E090B
	v_mul_f32_dpp v6, v25, v34 row_newbcast:3 row_mask:0xf bank_mask:0xf// 00000000400C: 0A0C44FA FF015319
	v_mfma_f32_16x16x32_fp8_fp8 v[8:11], a[208:209], a[16:17], 0// 000000004014: D3F30008 1A0221D0
	v_mfma_f32_16x16x32_fp8_fp8 v[8:11], a[210:211], a[18:19], v[8:11]// 00000000401C: D3F30008 1C2225D2
	buffer_load_dwordx4 a[120:123], v45, s[24:27], 0 offen     // 000000004024: E05C1000 8086782D
	v_mfma_f32_16x16x32_fp8_fp8 v[8:11], a[212:213], a[20:21], v[8:11]// 00000000402C: D3F30008 1C2229D4
	v_mfma_f32_16x16x32_fp8_fp8 v[8:11], a[214:215], a[22:23], v[8:11]// 000000004034: D3F30008 1C222DD6
	v_fma_f32 v92, v12, v4, v92                                // 00000000403C: D1CB005C 0572090C
	v_fma_f32 v93, v13, v4, v93                                // 000000004044: D1CB005D 0576090D
	v_fma_f32 v94, v14, v4, v94                                // 00000000404C: D1CB005E 057A090E
	v_fma_f32 v95, v15, v4, v95                                // 000000004054: D1CB005F 057E090F
	v_mfma_f32_16x16x32_fp8_fp8 v[12:15], a[216:217], a[16:17], 0// 00000000405C: D3F3000C 1A0221D8
	v_mfma_f32_16x16x32_fp8_fp8 v[12:15], a[218:219], a[18:19], v[12:15]// 000000004064: D3F3000C 1C3225DA
	buffer_load_dwordx4 a[124:127], v45, s[24:27], 0 offen offset:1024// 00000000406C: E05C1400 80867C2D
	v_mfma_f32_16x16x32_fp8_fp8 v[12:15], a[220:221], a[20:21], v[12:15]// 000000004074: D3F3000C 1C3229DC
	v_mfma_f32_16x16x32_fp8_fp8 v[12:15], a[222:223], a[22:23], v[12:15]// 00000000407C: D3F3000C 1C322DDE
	v_fma_f32 v100, v8, v6, v100                               // 000000004084: D1CB0064 05920D08
	v_fma_f32 v101, v9, v6, v101                               // 00000000408C: D1CB0065 05960D09
	v_fma_f32 v102, v10, v6, v102                              // 000000004094: D1CB0066 059A0D0A
	v_fma_f32 v103, v11, v6, v103                              // 00000000409C: D1CB0067 059E0D0B
	v_mul_f32_dpp v4, v25, v35 row_newbcast:0 row_mask:0xf bank_mask:0xf// 0000000040A4: 0A0846FA FF015019
	v_mfma_f32_16x16x32_fp8_fp8 v[8:11], a[160:161], a[24:25], 0// 0000000040AC: D3F30008 1A0231A0
	v_mfma_f32_16x16x32_fp8_fp8 v[8:11], a[162:163], a[26:27], v[8:11]// 0000000040B4: D3F30008 1C2235A2
	buffer_load_dwordx4 a[128:131], v46, s[24:27], 0 offen     // 0000000040BC: E05C1000 8086802E
	v_mfma_f32_16x16x32_fp8_fp8 v[8:11], a[164:165], a[28:29], v[8:11]// 0000000040C4: D3F30008 1C2239A4
	v_mfma_f32_16x16x32_fp8_fp8 v[8:11], a[166:167], a[30:31], v[8:11]// 0000000040CC: D3F30008 1C223DA6
	v_fma_f32 v108, v12, v6, v108                              // 0000000040D4: D1CB006C 05B20D0C
	v_fma_f32 v109, v13, v6, v109                              // 0000000040DC: D1CB006D 05B60D0D
	v_fma_f32 v110, v14, v6, v110                              // 0000000040E4: D1CB006E 05BA0D0E
	v_fma_f32 v111, v15, v6, v111                              // 0000000040EC: D1CB006F 05BE0D0F
	v_mfma_f32_16x16x32_fp8_fp8 v[12:15], a[168:169], a[24:25], 0// 0000000040F4: D3F3000C 1A0231A8
	v_mfma_f32_16x16x32_fp8_fp8 v[12:15], a[170:171], a[26:27], v[12:15]// 0000000040FC: D3F3000C 1C3235AA
	buffer_load_dwordx4 a[132:135], v46, s[24:27], 0 offen offset:1024// 000000004104: E05C1400 8086842E
	v_mfma_f32_16x16x32_fp8_fp8 v[12:15], a[172:173], a[28:29], v[12:15]// 00000000410C: D3F3000C 1C3239AC
	v_mfma_f32_16x16x32_fp8_fp8 v[12:15], a[174:175], a[30:31], v[12:15]// 000000004114: D3F3000C 1C323DAE
	v_fma_f32 v56, v8, v4, v56                                 // 00000000411C: D1CB0038 04E20908
	v_fma_f32 v57, v9, v4, v57                                 // 000000004124: D1CB0039 04E60909
	v_fma_f32 v58, v10, v4, v58                                // 00000000412C: D1CB003A 04EA090A
	v_fma_f32 v59, v11, v4, v59                                // 000000004134: D1CB003B 04EE090B
	v_mul_f32_dpp v6, v25, v35 row_newbcast:1 row_mask:0xf bank_mask:0xf// 00000000413C: 0A0C46FA FF015119
	v_mfma_f32_16x16x32_fp8_fp8 v[8:11], a[176:177], a[24:25], 0// 000000004144: D3F30008 1A0231B0
	v_mfma_f32_16x16x32_fp8_fp8 v[8:11], a[178:179], a[26:27], v[8:11]// 00000000414C: D3F30008 1C2235B2
	buffer_load_dwordx4 a[136:139], v47, s[24:27], 0 offen     // 000000004154: E05C1000 8086882F
	v_mfma_f32_16x16x32_fp8_fp8 v[8:11], a[180:181], a[28:29], v[8:11]// 00000000415C: D3F30008 1C2239B4
	v_mfma_f32_16x16x32_fp8_fp8 v[8:11], a[182:183], a[30:31], v[8:11]// 000000004164: D3F30008 1C223DB6
	v_fma_f32 v64, v12, v4, v64                                // 00000000416C: D1CB0040 0502090C
	v_fma_f32 v65, v13, v4, v65                                // 000000004174: D1CB0041 0506090D
	v_fma_f32 v66, v14, v4, v66                                // 00000000417C: D1CB0042 050A090E
	v_fma_f32 v67, v15, v4, v67                                // 000000004184: D1CB0043 050E090F
	v_mfma_f32_16x16x32_fp8_fp8 v[12:15], a[184:185], a[24:25], 0// 00000000418C: D3F3000C 1A0231B8
	v_mfma_f32_16x16x32_fp8_fp8 v[12:15], a[186:187], a[26:27], v[12:15]// 000000004194: D3F3000C 1C3235BA
	buffer_load_dwordx4 a[140:143], v47, s[24:27], 0 offen offset:1024// 00000000419C: E05C1400 80868C2F
	v_mfma_f32_16x16x32_fp8_fp8 v[12:15], a[188:189], a[28:29], v[12:15]// 0000000041A4: D3F3000C 1C3239BC
	v_mfma_f32_16x16x32_fp8_fp8 v[12:15], a[190:191], a[30:31], v[12:15]// 0000000041AC: D3F3000C 1C323DBE
	v_fma_f32 v72, v8, v6, v72                                 // 0000000041B4: D1CB0048 05220D08
	v_fma_f32 v73, v9, v6, v73                                 // 0000000041BC: D1CB0049 05260D09
	v_fma_f32 v74, v10, v6, v74                                // 0000000041C4: D1CB004A 052A0D0A
	v_fma_f32 v75, v11, v6, v75                                // 0000000041CC: D1CB004B 052E0D0B
	v_mul_f32_dpp v4, v25, v35 row_newbcast:2 row_mask:0xf bank_mask:0xf// 0000000041D4: 0A0846FA FF015219
	v_mfma_f32_16x16x32_fp8_fp8 v[8:11], a[192:193], a[24:25], 0// 0000000041DC: D3F30008 1A0231C0
	v_mfma_f32_16x16x32_fp8_fp8 v[8:11], a[194:195], a[26:27], v[8:11]// 0000000041E4: D3F30008 1C2235C2
	buffer_load_dwordx4 a[144:147], v48, s[24:27], 0 offen     // 0000000041EC: E05C1000 80869030
	v_mfma_f32_16x16x32_fp8_fp8 v[8:11], a[196:197], a[28:29], v[8:11]// 0000000041F4: D3F30008 1C2239C4
	v_mfma_f32_16x16x32_fp8_fp8 v[8:11], a[198:199], a[30:31], v[8:11]// 0000000041FC: D3F30008 1C223DC6
	v_fma_f32 v80, v12, v6, v80                                // 000000004204: D1CB0050 05420D0C
	v_fma_f32 v81, v13, v6, v81                                // 00000000420C: D1CB0051 05460D0D
	v_fma_f32 v82, v14, v6, v82                                // 000000004214: D1CB0052 054A0D0E
	v_fma_f32 v83, v15, v6, v83                                // 00000000421C: D1CB0053 054E0D0F
	v_mfma_f32_16x16x32_fp8_fp8 v[12:15], a[200:201], a[24:25], 0// 000000004224: D3F3000C 1A0231C8
	v_mfma_f32_16x16x32_fp8_fp8 v[12:15], a[202:203], a[26:27], v[12:15]// 00000000422C: D3F3000C 1C3235CA
	buffer_load_dwordx4 a[148:151], v48, s[24:27], 0 offen offset:1024// 000000004234: E05C1400 80869430
	v_mfma_f32_16x16x32_fp8_fp8 v[12:15], a[204:205], a[28:29], v[12:15]// 00000000423C: D3F3000C 1C3239CC
	v_mfma_f32_16x16x32_fp8_fp8 v[12:15], a[206:207], a[30:31], v[12:15]// 000000004244: D3F3000C 1C323DCE
	v_fma_f32 v88, v8, v4, v88                                 // 00000000424C: D1CB0058 05620908
	v_fma_f32 v89, v9, v4, v89                                 // 000000004254: D1CB0059 05660909
	v_fma_f32 v90, v10, v4, v90                                // 00000000425C: D1CB005A 056A090A
	v_fma_f32 v91, v11, v4, v91                                // 000000004264: D1CB005B 056E090B
	v_mul_f32_dpp v6, v25, v35 row_newbcast:3 row_mask:0xf bank_mask:0xf// 00000000426C: 0A0C46FA FF015319
	v_mfma_f32_16x16x32_fp8_fp8 v[8:11], a[208:209], a[24:25], 0// 000000004274: D3F30008 1A0231D0
	v_mfma_f32_16x16x32_fp8_fp8 v[8:11], a[210:211], a[26:27], v[8:11]// 00000000427C: D3F30008 1C2235D2
	buffer_load_dwordx4 a[152:155], v49, s[24:27], 0 offen     // 000000004284: E05C1000 80869831
	v_mfma_f32_16x16x32_fp8_fp8 v[8:11], a[212:213], a[28:29], v[8:11]// 00000000428C: D3F30008 1C2239D4
	v_mfma_f32_16x16x32_fp8_fp8 v[8:11], a[214:215], a[30:31], v[8:11]// 000000004294: D3F30008 1C223DD6
	v_fma_f32 v96, v12, v4, v96                                // 00000000429C: D1CB0060 0582090C
	v_fma_f32 v97, v13, v4, v97                                // 0000000042A4: D1CB0061 0586090D
	v_fma_f32 v98, v14, v4, v98                                // 0000000042AC: D1CB0062 058A090E
	v_fma_f32 v99, v15, v4, v99                                // 0000000042B4: D1CB0063 058E090F
	v_mfma_f32_16x16x32_fp8_fp8 v[12:15], a[216:217], a[24:25], 0// 0000000042BC: D3F3000C 1A0231D8
	v_mfma_f32_16x16x32_fp8_fp8 v[12:15], a[218:219], a[26:27], v[12:15]// 0000000042C4: D3F3000C 1C3235DA
	buffer_load_dwordx4 a[156:159], v49, s[24:27], 0 offen offset:1024// 0000000042CC: E05C1400 80869C31
	buffer_load_dword v38, s[20:23], 0 offen lds               // 0000000042D4: E0511000 80050026
	s_add_u32 m0, 0x100, s48                                   // 0000000042DC: 807C30FF 00000100
	v_mfma_f32_16x16x32_fp8_fp8 v[12:15], a[220:221], a[28:29], v[12:15]// 0000000042E4: D3F3000C 1C3239DC
	v_mfma_f32_16x16x32_fp8_fp8 v[12:15], a[222:223], a[30:31], v[12:15]// 0000000042EC: D3F3000C 1C323DDE
	buffer_load_dword v39, s[20:23], 0 offen lds               // 0000000042F4: E0511000 80050027
	s_add_u32 m0, 0x200, s48                                   // 0000000042FC: 807C30FF 00000200
	v_fma_f32 v104, v8, v6, v104                               // 000000004304: D1CB0068 05A20D08
	v_fma_f32 v105, v9, v6, v105                               // 00000000430C: D1CB0069 05A60D09
	v_fma_f32 v106, v10, v6, v106                              // 000000004314: D1CB006A 05AA0D0A
	v_fma_f32 v107, v11, v6, v107                              // 00000000431C: D1CB006B 05AE0D0B
	v_fma_f32 v112, v12, v6, v112                              // 000000004324: D1CB0070 05C20D0C
	v_fma_f32 v113, v13, v6, v113                              // 00000000432C: D1CB0071 05C60D0D
	v_fma_f32 v114, v14, v6, v114                              // 000000004334: D1CB0072 05CA0D0E
	v_fma_f32 v115, v15, v6, v115                              // 00000000433C: D1CB0073 05CE0D0F
	buffer_load_dword v40, s[20:23], 0 offen lds               // 000000004344: E0511000 80050028
	s_add_u32 m0, 0x300, s48                                   // 00000000434C: 807C30FF 00000300
	buffer_load_dword v41, s[20:23], 0 offen lds               // 000000004354: E0511000 80050029
	s_add_u32 m0, 0, s49                                       // 00000000435C: 807C3180
	buffer_load_dword v32, v30, s[28:31], 0 offen              // 000000004360: E0501000 8007201E
	buffer_load_dword v33, v31, s[28:31], 0 offen              // 000000004368: E0501000 8007211F
	s_waitcnt vmcnt(23)                                        // 000000004370: BF8C4F77
	s_barrier                                                  // 000000004374: BF8A0000
	v_mul_f32_dpp v4, v28, v34 row_newbcast:0 row_mask:0xf bank_mask:0xf// 000000004378: 0A0844FA FF01501C
	v_mfma_f32_16x16x32_fp8_fp8 v[8:11], a[32:33], a[16:17], 0 // 000000004380: D3F30008 1A022120
	buffer_load_dword v29, v23, s[32:35], 0 offen              // 000000004388: E0501000 80081D17
	v_mfma_f32_16x16x32_fp8_fp8 v[8:11], a[34:35], a[18:19], v[8:11]// 000000004390: D3F30008 1C222522
	buffer_load_dwordx4 a[160:163], v42, s[84:87], 0 offen     // 000000004398: E05C1000 8095A02A
	v_mfma_f32_16x16x32_fp8_fp8 v[8:11], a[36:37], a[20:21], v[8:11]// 0000000043A0: D3F30008 1C222924
	v_mfma_f32_16x16x32_fp8_fp8 v[8:11], a[38:39], a[22:23], v[8:11]// 0000000043A8: D3F30008 1C222D26
	ds_read_b128 a[0:3], v2 offset:8448                        // 0000000043B0: DBFE2100 00000002
	ds_read_b128 a[4:7], v2 offset:8512                        // 0000000043B8: DBFE2140 04000002
	v_mfma_f32_16x16x32_fp8_fp8 v[12:15], a[40:41], a[16:17], 0// 0000000043C0: D3F3000C 1A022128
	v_mfma_f32_16x16x32_fp8_fp8 v[12:15], a[42:43], a[18:19], v[12:15]// 0000000043C8: D3F3000C 1C32252A
	buffer_load_dwordx4 a[164:167], v42, s[84:87], 0 offen offset:1024// 0000000043D0: E05C1400 8095A42A
	v_mfma_f32_16x16x32_fp8_fp8 v[12:15], a[44:45], a[20:21], v[12:15]// 0000000043D8: D3F3000C 1C32292C
	v_mfma_f32_16x16x32_fp8_fp8 v[12:15], a[46:47], a[22:23], v[12:15]// 0000000043E0: D3F3000C 1C322D2E
	ds_read_b128 a[8:11], v2 offset:8960                       // 0000000043E8: DBFE2300 08000002
	ds_read_b128 a[12:15], v2 offset:9024                      // 0000000043F0: DBFE2340 0C000002
	v_fma_f32 v116, v8, v4, v116                               // 0000000043F8: D1CB0074 05D20908
	v_fma_f32 v117, v9, v4, v117                               // 000000004400: D1CB0075 05D60909
	v_fma_f32 v118, v10, v4, v118                              // 000000004408: D1CB0076 05DA090A
	v_fma_f32 v119, v11, v4, v119                              // 000000004410: D1CB0077 05DE090B
	v_mul_f32_dpp v6, v28, v34 row_newbcast:1 row_mask:0xf bank_mask:0xf// 000000004418: 0A0C44FA FF01511C
	v_mfma_f32_16x16x32_fp8_fp8 v[8:11], a[48:49], a[16:17], 0 // 000000004420: D3F30008 1A022130
	v_mfma_f32_16x16x32_fp8_fp8 v[8:11], a[50:51], a[18:19], v[8:11]// 000000004428: D3F30008 1C222532
	buffer_load_dwordx4 a[168:171], v43, s[84:87], 0 offen     // 000000004430: E05C1000 8095A82B
	v_mfma_f32_16x16x32_fp8_fp8 v[8:11], a[52:53], a[20:21], v[8:11]// 000000004438: D3F30008 1C222934
	v_mfma_f32_16x16x32_fp8_fp8 v[8:11], a[54:55], a[22:23], v[8:11]// 000000004440: D3F30008 1C222D36
	v_fma_f32 v124, v12, v4, v124                              // 000000004448: D1CB007C 05F2090C
	v_fma_f32 v125, v13, v4, v125                              // 000000004450: D1CB007D 05F6090D
	v_fma_f32 v126, v14, v4, v126                              // 000000004458: D1CB007E 05FA090E
	v_fma_f32 v127, v15, v4, v127                              // 000000004460: D1CB007F 05FE090F
	v_mfma_f32_16x16x32_fp8_fp8 v[12:15], a[56:57], a[16:17], 0// 000000004468: D3F3000C 1A022138
	v_mfma_f32_16x16x32_fp8_fp8 v[12:15], a[58:59], a[18:19], v[12:15]// 000000004470: D3F3000C 1C32253A
	buffer_load_dwordx4 a[172:175], v43, s[84:87], 0 offen offset:1024// 000000004478: E05C1400 8095AC2B
	v_mfma_f32_16x16x32_fp8_fp8 v[12:15], a[60:61], a[20:21], v[12:15]// 000000004480: D3F3000C 1C32293C
	v_mfma_f32_16x16x32_fp8_fp8 v[12:15], a[62:63], a[22:23], v[12:15]// 000000004488: D3F3000C 1C322D3E
	v_fma_f32 v132, v8, v6, v132                               // 000000004490: D1CB0084 06120D08
	v_fma_f32 v133, v9, v6, v133                               // 000000004498: D1CB0085 06160D09
	v_fma_f32 v134, v10, v6, v134                              // 0000000044A0: D1CB0086 061A0D0A
	v_fma_f32 v135, v11, v6, v135                              // 0000000044A8: D1CB0087 061E0D0B
	v_mul_f32_dpp v4, v28, v34 row_newbcast:2 row_mask:0xf bank_mask:0xf// 0000000044B0: 0A0844FA FF01521C
	v_mfma_f32_16x16x32_fp8_fp8 v[8:11], a[64:65], a[16:17], 0 // 0000000044B8: D3F30008 1A022140
	v_mfma_f32_16x16x32_fp8_fp8 v[8:11], a[66:67], a[18:19], v[8:11]// 0000000044C0: D3F30008 1C222542
	buffer_load_dwordx4 a[176:179], v44, s[84:87], 0 offen     // 0000000044C8: E05C1000 8095B02C
	v_mfma_f32_16x16x32_fp8_fp8 v[8:11], a[68:69], a[20:21], v[8:11]// 0000000044D0: D3F30008 1C222944
	v_mfma_f32_16x16x32_fp8_fp8 v[8:11], a[70:71], a[22:23], v[8:11]// 0000000044D8: D3F30008 1C222D46
	v_fma_f32 v140, v12, v6, v140                              // 0000000044E0: D1CB008C 06320D0C
	v_fma_f32 v141, v13, v6, v141                              // 0000000044E8: D1CB008D 06360D0D
	v_fma_f32 v142, v14, v6, v142                              // 0000000044F0: D1CB008E 063A0D0E
	v_fma_f32 v143, v15, v6, v143                              // 0000000044F8: D1CB008F 063E0D0F
	v_mfma_f32_16x16x32_fp8_fp8 v[12:15], a[72:73], a[16:17], 0// 000000004500: D3F3000C 1A022148
	v_mfma_f32_16x16x32_fp8_fp8 v[12:15], a[74:75], a[18:19], v[12:15]// 000000004508: D3F3000C 1C32254A
	buffer_load_dwordx4 a[180:183], v44, s[84:87], 0 offen offset:1024// 000000004510: E05C1400 8095B42C
	v_mfma_f32_16x16x32_fp8_fp8 v[12:15], a[76:77], a[20:21], v[12:15]// 000000004518: D3F3000C 1C32294C
	v_mfma_f32_16x16x32_fp8_fp8 v[12:15], a[78:79], a[22:23], v[12:15]// 000000004520: D3F3000C 1C322D4E
	v_fma_f32 v148, v8, v4, v148                               // 000000004528: D1CB0094 06520908
	v_fma_f32 v149, v9, v4, v149                               // 000000004530: D1CB0095 06560909
	v_fma_f32 v150, v10, v4, v150                              // 000000004538: D1CB0096 065A090A
	v_fma_f32 v151, v11, v4, v151                              // 000000004540: D1CB0097 065E090B
	v_mul_f32_dpp v6, v28, v34 row_newbcast:3 row_mask:0xf bank_mask:0xf// 000000004548: 0A0C44FA FF01531C
	v_mfma_f32_16x16x32_fp8_fp8 v[8:11], a[80:81], a[16:17], 0 // 000000004550: D3F30008 1A022150
	v_mfma_f32_16x16x32_fp8_fp8 v[8:11], a[82:83], a[18:19], v[8:11]// 000000004558: D3F30008 1C222552
	buffer_load_dwordx4 a[184:187], v45, s[84:87], 0 offen     // 000000004560: E05C1000 8095B82D
	v_mfma_f32_16x16x32_fp8_fp8 v[8:11], a[84:85], a[20:21], v[8:11]// 000000004568: D3F30008 1C222954
	v_mfma_f32_16x16x32_fp8_fp8 v[8:11], a[86:87], a[22:23], v[8:11]// 000000004570: D3F30008 1C222D56
	v_fma_f32 v156, v12, v4, v156                              // 000000004578: D1CB009C 0672090C
	v_fma_f32 v157, v13, v4, v157                              // 000000004580: D1CB009D 0676090D
	v_fma_f32 v158, v14, v4, v158                              // 000000004588: D1CB009E 067A090E
	v_fma_f32 v159, v15, v4, v159                              // 000000004590: D1CB009F 067E090F
	v_mfma_f32_16x16x32_fp8_fp8 v[12:15], a[88:89], a[16:17], 0// 000000004598: D3F3000C 1A022158
	v_mfma_f32_16x16x32_fp8_fp8 v[12:15], a[90:91], a[18:19], v[12:15]// 0000000045A0: D3F3000C 1C32255A
	buffer_load_dwordx4 a[188:191], v45, s[84:87], 0 offen offset:1024// 0000000045A8: E05C1400 8095BC2D
	v_mfma_f32_16x16x32_fp8_fp8 v[12:15], a[92:93], a[20:21], v[12:15]// 0000000045B0: D3F3000C 1C32295C
	v_mfma_f32_16x16x32_fp8_fp8 v[12:15], a[94:95], a[22:23], v[12:15]// 0000000045B8: D3F3000C 1C322D5E
	v_fma_f32 v164, v8, v6, v164                               // 0000000045C0: D1CB00A4 06920D08
	v_fma_f32 v165, v9, v6, v165                               // 0000000045C8: D1CB00A5 06960D09
	v_fma_f32 v166, v10, v6, v166                              // 0000000045D0: D1CB00A6 069A0D0A
	v_fma_f32 v167, v11, v6, v167                              // 0000000045D8: D1CB00A7 069E0D0B
	v_mul_f32_dpp v4, v28, v35 row_newbcast:0 row_mask:0xf bank_mask:0xf// 0000000045E0: 0A0846FA FF01501C
	v_mfma_f32_16x16x32_fp8_fp8 v[8:11], a[32:33], a[24:25], 0 // 0000000045E8: D3F30008 1A023120
	v_mfma_f32_16x16x32_fp8_fp8 v[8:11], a[34:35], a[26:27], v[8:11]// 0000000045F0: D3F30008 1C223522
	buffer_load_dwordx4 a[192:195], v46, s[84:87], 0 offen     // 0000000045F8: E05C1000 8095C02E
	v_mfma_f32_16x16x32_fp8_fp8 v[8:11], a[36:37], a[28:29], v[8:11]// 000000004600: D3F30008 1C223924
	v_mfma_f32_16x16x32_fp8_fp8 v[8:11], a[38:39], a[30:31], v[8:11]// 000000004608: D3F30008 1C223D26
	v_fma_f32 v172, v12, v6, v172                              // 000000004610: D1CB00AC 06B20D0C
	v_fma_f32 v173, v13, v6, v173                              // 000000004618: D1CB00AD 06B60D0D
	v_fma_f32 v174, v14, v6, v174                              // 000000004620: D1CB00AE 06BA0D0E
	v_fma_f32 v175, v15, v6, v175                              // 000000004628: D1CB00AF 06BE0D0F
	v_mfma_f32_16x16x32_fp8_fp8 v[12:15], a[40:41], a[24:25], 0// 000000004630: D3F3000C 1A023128
	v_mfma_f32_16x16x32_fp8_fp8 v[12:15], a[42:43], a[26:27], v[12:15]// 000000004638: D3F3000C 1C32352A
	buffer_load_dwordx4 a[196:199], v46, s[84:87], 0 offen offset:1024// 000000004640: E05C1400 8095C42E
	v_mfma_f32_16x16x32_fp8_fp8 v[12:15], a[44:45], a[28:29], v[12:15]// 000000004648: D3F3000C 1C32392C
	v_mfma_f32_16x16x32_fp8_fp8 v[12:15], a[46:47], a[30:31], v[12:15]// 000000004650: D3F3000C 1C323D2E
	v_fma_f32 v120, v8, v4, v120                               // 000000004658: D1CB0078 05E20908
	v_fma_f32 v121, v9, v4, v121                               // 000000004660: D1CB0079 05E60909
	v_fma_f32 v122, v10, v4, v122                              // 000000004668: D1CB007A 05EA090A
	v_fma_f32 v123, v11, v4, v123                              // 000000004670: D1CB007B 05EE090B
	v_mul_f32_dpp v6, v28, v35 row_newbcast:1 row_mask:0xf bank_mask:0xf// 000000004678: 0A0C46FA FF01511C
	v_mfma_f32_16x16x32_fp8_fp8 v[8:11], a[48:49], a[24:25], 0 // 000000004680: D3F30008 1A023130
	v_mfma_f32_16x16x32_fp8_fp8 v[8:11], a[50:51], a[26:27], v[8:11]// 000000004688: D3F30008 1C223532
	buffer_load_dwordx4 a[200:203], v47, s[84:87], 0 offen     // 000000004690: E05C1000 8095C82F
	v_mfma_f32_16x16x32_fp8_fp8 v[8:11], a[52:53], a[28:29], v[8:11]// 000000004698: D3F30008 1C223934
	v_mfma_f32_16x16x32_fp8_fp8 v[8:11], a[54:55], a[30:31], v[8:11]// 0000000046A0: D3F30008 1C223D36
	v_fma_f32 v128, v12, v4, v128                              // 0000000046A8: D1CB0080 0602090C
	v_fma_f32 v129, v13, v4, v129                              // 0000000046B0: D1CB0081 0606090D
	v_fma_f32 v130, v14, v4, v130                              // 0000000046B8: D1CB0082 060A090E
	v_fma_f32 v131, v15, v4, v131                              // 0000000046C0: D1CB0083 060E090F
	v_mfma_f32_16x16x32_fp8_fp8 v[12:15], a[56:57], a[24:25], 0// 0000000046C8: D3F3000C 1A023138
	v_mfma_f32_16x16x32_fp8_fp8 v[12:15], a[58:59], a[26:27], v[12:15]// 0000000046D0: D3F3000C 1C32353A
	buffer_load_dwordx4 a[204:207], v47, s[84:87], 0 offen offset:1024// 0000000046D8: E05C1400 8095CC2F
	v_mfma_f32_16x16x32_fp8_fp8 v[12:15], a[60:61], a[28:29], v[12:15]// 0000000046E0: D3F3000C 1C32393C
	v_mfma_f32_16x16x32_fp8_fp8 v[12:15], a[62:63], a[30:31], v[12:15]// 0000000046E8: D3F3000C 1C323D3E
	v_fma_f32 v136, v8, v6, v136                               // 0000000046F0: D1CB0088 06220D08
	v_fma_f32 v137, v9, v6, v137                               // 0000000046F8: D1CB0089 06260D09
	v_fma_f32 v138, v10, v6, v138                              // 000000004700: D1CB008A 062A0D0A
	v_fma_f32 v139, v11, v6, v139                              // 000000004708: D1CB008B 062E0D0B
	v_mul_f32_dpp v4, v28, v35 row_newbcast:2 row_mask:0xf bank_mask:0xf// 000000004710: 0A0846FA FF01521C
	v_mfma_f32_16x16x32_fp8_fp8 v[8:11], a[64:65], a[24:25], 0 // 000000004718: D3F30008 1A023140
	v_mfma_f32_16x16x32_fp8_fp8 v[8:11], a[66:67], a[26:27], v[8:11]// 000000004720: D3F30008 1C223542
	buffer_load_dwordx4 a[208:211], v48, s[84:87], 0 offen     // 000000004728: E05C1000 8095D030
	v_mfma_f32_16x16x32_fp8_fp8 v[8:11], a[68:69], a[28:29], v[8:11]// 000000004730: D3F30008 1C223944
	v_mfma_f32_16x16x32_fp8_fp8 v[8:11], a[70:71], a[30:31], v[8:11]// 000000004738: D3F30008 1C223D46
	v_fma_f32 v144, v12, v6, v144                              // 000000004740: D1CB0090 06420D0C
	v_fma_f32 v145, v13, v6, v145                              // 000000004748: D1CB0091 06460D0D
	v_fma_f32 v146, v14, v6, v146                              // 000000004750: D1CB0092 064A0D0E
	v_fma_f32 v147, v15, v6, v147                              // 000000004758: D1CB0093 064E0D0F
	v_mfma_f32_16x16x32_fp8_fp8 v[12:15], a[72:73], a[24:25], 0// 000000004760: D3F3000C 1A023148
	v_mfma_f32_16x16x32_fp8_fp8 v[12:15], a[74:75], a[26:27], v[12:15]// 000000004768: D3F3000C 1C32354A
	buffer_load_dwordx4 a[212:215], v48, s[84:87], 0 offen offset:1024// 000000004770: E05C1400 8095D430
	v_mfma_f32_16x16x32_fp8_fp8 v[12:15], a[76:77], a[28:29], v[12:15]// 000000004778: D3F3000C 1C32394C
	v_mfma_f32_16x16x32_fp8_fp8 v[12:15], a[78:79], a[30:31], v[12:15]// 000000004780: D3F3000C 1C323D4E
	v_fma_f32 v152, v8, v4, v152                               // 000000004788: D1CB0098 06620908
	v_fma_f32 v153, v9, v4, v153                               // 000000004790: D1CB0099 06660909
	v_fma_f32 v154, v10, v4, v154                              // 000000004798: D1CB009A 066A090A
	v_fma_f32 v155, v11, v4, v155                              // 0000000047A0: D1CB009B 066E090B
	v_mul_f32_dpp v6, v28, v35 row_newbcast:3 row_mask:0xf bank_mask:0xf// 0000000047A8: 0A0C46FA FF01531C
	v_mfma_f32_16x16x32_fp8_fp8 v[8:11], a[80:81], a[24:25], 0 // 0000000047B0: D3F30008 1A023150
	s_add_u32 s60, 0x180, s80                                  // 0000000047B8: 803C50FF 00000180
	s_cmp_lt_u32 s60, s81                                      // 0000000047C0: BF0A513C
	s_cselect_b32 s57, s57, 0                                  // 0000000047C4: 85398039
	s_cselect_b32 s3, s3, 0                                    // 0000000047C8: 85038003
	v_mfma_f32_16x16x32_fp8_fp8 v[8:11], a[82:83], a[26:27], v[8:11]// 0000000047CC: D3F30008 1C223552
	buffer_load_dwordx4 a[216:219], v49, s[84:87], 0 offen     // 0000000047D4: E05C1000 8095D831
	s_add_u32 s60, 0x100, s80                                  // 0000000047DC: 803C50FF 00000100
	s_cmp_lt_u32 s60, s81                                      // 0000000047E4: BF0A513C
	s_cselect_b32 s58, s58, 0                                  // 0000000047E8: 853A803A
	v_mfma_f32_16x16x32_fp8_fp8 v[8:11], a[84:85], a[28:29], v[8:11]// 0000000047EC: D3F30008 1C223954
	s_add_u32 s60, 0x100, s80                                  // 0000000047F4: 803C50FF 00000100
	s_cmp_lt_u32 s60, s81                                      // 0000000047FC: BF0A513C
	s_cselect_b32 s83, s83, 0                                  // 000000004800: 85538053
	s_cselect_b32 s4, s4, 0                                    // 000000004804: 85048004
	v_mfma_f32_16x16x32_fp8_fp8 v[8:11], a[86:87], a[30:31], v[8:11]// 000000004808: D3F30008 1C223D56
	s_add_u32 s24, s58, s24                                    // 000000004810: 8018183A
	s_addc_u32 s25, 0, s25                                     // 000000004814: 82191980
	v_fma_f32 v160, v12, v4, v160                              // 000000004818: D1CB00A0 0682090C
	v_fma_f32 v161, v13, v4, v161                              // 000000004820: D1CB00A1 0686090D
	v_fma_f32 v162, v14, v4, v162                              // 000000004828: D1CB00A2 068A090E
	v_fma_f32 v163, v15, v4, v163                              // 000000004830: D1CB00A3 068E090F
	v_mfma_f32_16x16x32_fp8_fp8 v[12:15], a[88:89], a[24:25], 0// 000000004838: D3F3000C 1A023158
	s_add_u32 s20, s57, s20                                    // 000000004840: 80141439
	s_addc_u32 s21, 0, s21                                     // 000000004844: 82151580
	s_add_u32 s28, s3, s28                                     // 000000004848: 801C1C03
	s_addc_u32 s29, 0, s29                                     // 00000000484C: 821D1D80
	v_mfma_f32_16x16x32_fp8_fp8 v[12:15], a[90:91], a[26:27], v[12:15]// 000000004850: D3F3000C 1C32355A
	buffer_load_dwordx4 a[220:223], v49, s[84:87], 0 offen offset:1024// 000000004858: E05C1400 8095DC31
	s_add_u32 s84, s83, s84                                    // 000000004860: 80545453
	s_addc_u32 s85, 0, s85                                     // 000000004864: 82555580
	v_mfma_f32_16x16x32_fp8_fp8 v[12:15], a[92:93], a[28:29], v[12:15]// 000000004868: D3F3000C 1C32395C
	s_add_u32 s32, s4, s32                                     // 000000004870: 80202004
	s_addc_u32 s33, 0, s33                                     // 000000004874: 82212180
	v_mfma_f32_16x16x32_fp8_fp8 v[12:15], a[94:95], a[30:31], v[12:15]// 000000004878: D3F3000C 1C323D5E
	v_fma_f32 v168, v8, v6, v168                               // 000000004880: D1CB00A8 06A20D08
	v_fma_f32 v169, v9, v6, v169                               // 000000004888: D1CB00A9 06A60D09
	v_fma_f32 v170, v10, v6, v170                              // 000000004890: D1CB00AA 06AA0D0A
	v_fma_f32 v171, v11, v6, v171                              // 000000004898: D1CB00AB 06AE0D0B
	v_fma_f32 v176, v12, v6, v176                              // 0000000048A0: D1CB00B0 06C20D0C
	v_fma_f32 v177, v13, v6, v177                              // 0000000048A8: D1CB00B1 06C60D0D
	v_fma_f32 v178, v14, v6, v178                              // 0000000048B0: D1CB00B2 06CA0D0E
	v_fma_f32 v179, v15, v6, v179                              // 0000000048B8: D1CB00B3 06CE0D0F
	s_addk_i32 s80, 0x80                                       // 0000000048C0: B7500080
	s_cmp_lt_i32 s80, s81                                      // 0000000048C4: BF045150
	s_cbranch_scc0 label_1228                                  // 0000000048C8: BF840A75
	s_waitcnt vmcnt(23) lgkmcnt(0)                             // 0000000048CC: BF8C4077
	v_mul_f32_dpp v4, v26, v36 row_newbcast:0 row_mask:0xf bank_mask:0xf// 0000000048D0: 0A0848FA FF01501A
	v_mfma_f32_16x16x32_fp8_fp8 v[8:11], a[96:97], a[0:1], 0   // 0000000048D8: D3F30008 1A020160
	buffer_load_dword v24, v22, s[32:35], 0 offen              // 0000000048E0: E0501000 80081816
	v_mfma_f32_16x16x32_fp8_fp8 v[8:11], a[98:99], a[2:3], v[8:11]// 0000000048E8: D3F30008 1C220562
	buffer_load_dwordx4 a[32:35], v42, s[24:27], 0 offen       // 0000000048F0: E05C1000 8086202A
	v_mfma_f32_16x16x32_fp8_fp8 v[8:11], a[100:101], a[4:5], v[8:11]// 0000000048F8: D3F30008 1C220964
	v_mfma_f32_16x16x32_fp8_fp8 v[8:11], a[102:103], a[6:7], v[8:11]// 000000004900: D3F30008 1C220D66
	v_mfma_f32_16x16x32_fp8_fp8 v[12:15], a[104:105], a[0:1], 0// 000000004908: D3F3000C 1A020168
	v_mfma_f32_16x16x32_fp8_fp8 v[12:15], a[106:107], a[2:3], v[12:15]// 000000004910: D3F3000C 1C32056A
	buffer_load_dwordx4 a[36:39], v42, s[24:27], 0 offen offset:1024// 000000004918: E05C1400 8086242A
	v_mfma_f32_16x16x32_fp8_fp8 v[12:15], a[108:109], a[4:5], v[12:15]// 000000004920: D3F3000C 1C32096C
	v_mfma_f32_16x16x32_fp8_fp8 v[12:15], a[110:111], a[6:7], v[12:15]// 000000004928: D3F3000C 1C320D6E
	v_fma_f32 v52, v8, v4, v52                                 // 000000004930: D1CB0034 04D20908
	v_fma_f32 v53, v9, v4, v53                                 // 000000004938: D1CB0035 04D60909
	v_fma_f32 v54, v10, v4, v54                                // 000000004940: D1CB0036 04DA090A
	v_fma_f32 v55, v11, v4, v55                                // 000000004948: D1CB0037 04DE090B
	v_mul_f32_dpp v6, v26, v36 row_newbcast:1 row_mask:0xf bank_mask:0xf// 000000004950: 0A0C48FA FF01511A
	v_mfma_f32_16x16x32_fp8_fp8 v[8:11], a[112:113], a[0:1], 0 // 000000004958: D3F30008 1A020170
	v_mfma_f32_16x16x32_fp8_fp8 v[8:11], a[114:115], a[2:3], v[8:11]// 000000004960: D3F30008 1C220572
	buffer_load_dwordx4 a[40:43], v43, s[24:27], 0 offen       // 000000004968: E05C1000 8086282B
	v_mfma_f32_16x16x32_fp8_fp8 v[8:11], a[116:117], a[4:5], v[8:11]// 000000004970: D3F30008 1C220974
	v_mfma_f32_16x16x32_fp8_fp8 v[8:11], a[118:119], a[6:7], v[8:11]// 000000004978: D3F30008 1C220D76
	v_fma_f32 v60, v12, v4, v60                                // 000000004980: D1CB003C 04F2090C
	v_fma_f32 v61, v13, v4, v61                                // 000000004988: D1CB003D 04F6090D
	v_fma_f32 v62, v14, v4, v62                                // 000000004990: D1CB003E 04FA090E
	v_fma_f32 v63, v15, v4, v63                                // 000000004998: D1CB003F 04FE090F
	v_mfma_f32_16x16x32_fp8_fp8 v[12:15], a[120:121], a[0:1], 0// 0000000049A0: D3F3000C 1A020178
	v_mfma_f32_16x16x32_fp8_fp8 v[12:15], a[122:123], a[2:3], v[12:15]// 0000000049A8: D3F3000C 1C32057A
	buffer_load_dwordx4 a[44:47], v43, s[24:27], 0 offen offset:1024// 0000000049B0: E05C1400 80862C2B
	v_mfma_f32_16x16x32_fp8_fp8 v[12:15], a[124:125], a[4:5], v[12:15]// 0000000049B8: D3F3000C 1C32097C
	v_mfma_f32_16x16x32_fp8_fp8 v[12:15], a[126:127], a[6:7], v[12:15]// 0000000049C0: D3F3000C 1C320D7E
	v_fma_f32 v68, v8, v6, v68                                 // 0000000049C8: D1CB0044 05120D08
	v_fma_f32 v69, v9, v6, v69                                 // 0000000049D0: D1CB0045 05160D09
	v_fma_f32 v70, v10, v6, v70                                // 0000000049D8: D1CB0046 051A0D0A
	v_fma_f32 v71, v11, v6, v71                                // 0000000049E0: D1CB0047 051E0D0B
	v_mul_f32_dpp v4, v26, v36 row_newbcast:2 row_mask:0xf bank_mask:0xf// 0000000049E8: 0A0848FA FF01521A
	v_mfma_f32_16x16x32_fp8_fp8 v[8:11], a[128:129], a[0:1], 0 // 0000000049F0: D3F30008 1A020180
	v_mfma_f32_16x16x32_fp8_fp8 v[8:11], a[130:131], a[2:3], v[8:11]// 0000000049F8: D3F30008 1C220582
	buffer_load_dwordx4 a[48:51], v44, s[24:27], 0 offen       // 000000004A00: E05C1000 8086302C
	v_mfma_f32_16x16x32_fp8_fp8 v[8:11], a[132:133], a[4:5], v[8:11]// 000000004A08: D3F30008 1C220984
	v_mfma_f32_16x16x32_fp8_fp8 v[8:11], a[134:135], a[6:7], v[8:11]// 000000004A10: D3F30008 1C220D86
	v_fma_f32 v76, v12, v6, v76                                // 000000004A18: D1CB004C 05320D0C
	v_fma_f32 v77, v13, v6, v77                                // 000000004A20: D1CB004D 05360D0D
	v_fma_f32 v78, v14, v6, v78                                // 000000004A28: D1CB004E 053A0D0E
	v_fma_f32 v79, v15, v6, v79                                // 000000004A30: D1CB004F 053E0D0F
	v_mfma_f32_16x16x32_fp8_fp8 v[12:15], a[136:137], a[0:1], 0// 000000004A38: D3F3000C 1A020188
	v_mfma_f32_16x16x32_fp8_fp8 v[12:15], a[138:139], a[2:3], v[12:15]// 000000004A40: D3F3000C 1C32058A
	buffer_load_dwordx4 a[52:55], v44, s[24:27], 0 offen offset:1024// 000000004A48: E05C1400 8086342C
	v_mfma_f32_16x16x32_fp8_fp8 v[12:15], a[140:141], a[4:5], v[12:15]// 000000004A50: D3F3000C 1C32098C
	v_mfma_f32_16x16x32_fp8_fp8 v[12:15], a[142:143], a[6:7], v[12:15]// 000000004A58: D3F3000C 1C320D8E
	v_fma_f32 v84, v8, v4, v84                                 // 000000004A60: D1CB0054 05520908
	v_fma_f32 v85, v9, v4, v85                                 // 000000004A68: D1CB0055 05560909
	v_fma_f32 v86, v10, v4, v86                                // 000000004A70: D1CB0056 055A090A
	v_fma_f32 v87, v11, v4, v87                                // 000000004A78: D1CB0057 055E090B
	v_mul_f32_dpp v6, v26, v36 row_newbcast:3 row_mask:0xf bank_mask:0xf// 000000004A80: 0A0C48FA FF01531A
	v_mfma_f32_16x16x32_fp8_fp8 v[8:11], a[144:145], a[0:1], 0 // 000000004A88: D3F30008 1A020190
	v_mfma_f32_16x16x32_fp8_fp8 v[8:11], a[146:147], a[2:3], v[8:11]// 000000004A90: D3F30008 1C220592
	buffer_load_dwordx4 a[56:59], v45, s[24:27], 0 offen       // 000000004A98: E05C1000 8086382D
	v_mfma_f32_16x16x32_fp8_fp8 v[8:11], a[148:149], a[4:5], v[8:11]// 000000004AA0: D3F30008 1C220994
	v_mfma_f32_16x16x32_fp8_fp8 v[8:11], a[150:151], a[6:7], v[8:11]// 000000004AA8: D3F30008 1C220D96
	v_fma_f32 v92, v12, v4, v92                                // 000000004AB0: D1CB005C 0572090C
	v_fma_f32 v93, v13, v4, v93                                // 000000004AB8: D1CB005D 0576090D
	v_fma_f32 v94, v14, v4, v94                                // 000000004AC0: D1CB005E 057A090E
	v_fma_f32 v95, v15, v4, v95                                // 000000004AC8: D1CB005F 057E090F
	v_mfma_f32_16x16x32_fp8_fp8 v[12:15], a[152:153], a[0:1], 0// 000000004AD0: D3F3000C 1A020198
	v_mfma_f32_16x16x32_fp8_fp8 v[12:15], a[154:155], a[2:3], v[12:15]// 000000004AD8: D3F3000C 1C32059A
	buffer_load_dwordx4 a[60:63], v45, s[24:27], 0 offen offset:1024// 000000004AE0: E05C1400 80863C2D
	v_mfma_f32_16x16x32_fp8_fp8 v[12:15], a[156:157], a[4:5], v[12:15]// 000000004AE8: D3F3000C 1C32099C
	v_mfma_f32_16x16x32_fp8_fp8 v[12:15], a[158:159], a[6:7], v[12:15]// 000000004AF0: D3F3000C 1C320D9E
	v_fma_f32 v100, v8, v6, v100                               // 000000004AF8: D1CB0064 05920D08
	v_fma_f32 v101, v9, v6, v101                               // 000000004B00: D1CB0065 05960D09
	v_fma_f32 v102, v10, v6, v102                              // 000000004B08: D1CB0066 059A0D0A
	v_fma_f32 v103, v11, v6, v103                              // 000000004B10: D1CB0067 059E0D0B
	v_mul_f32_dpp v4, v26, v37 row_newbcast:0 row_mask:0xf bank_mask:0xf// 000000004B18: 0A084AFA FF01501A
	v_mfma_f32_16x16x32_fp8_fp8 v[8:11], a[96:97], a[8:9], 0   // 000000004B20: D3F30008 1A021160
	v_mfma_f32_16x16x32_fp8_fp8 v[8:11], a[98:99], a[10:11], v[8:11]// 000000004B28: D3F30008 1C221562
	buffer_load_dwordx4 a[64:67], v46, s[24:27], 0 offen       // 000000004B30: E05C1000 8086402E
	v_mfma_f32_16x16x32_fp8_fp8 v[8:11], a[100:101], a[12:13], v[8:11]// 000000004B38: D3F30008 1C221964
	v_mfma_f32_16x16x32_fp8_fp8 v[8:11], a[102:103], a[14:15], v[8:11]// 000000004B40: D3F30008 1C221D66
	v_fma_f32 v108, v12, v6, v108                              // 000000004B48: D1CB006C 05B20D0C
	v_fma_f32 v109, v13, v6, v109                              // 000000004B50: D1CB006D 05B60D0D
	v_fma_f32 v110, v14, v6, v110                              // 000000004B58: D1CB006E 05BA0D0E
	v_fma_f32 v111, v15, v6, v111                              // 000000004B60: D1CB006F 05BE0D0F
	v_mfma_f32_16x16x32_fp8_fp8 v[12:15], a[104:105], a[8:9], 0// 000000004B68: D3F3000C 1A021168
	v_mfma_f32_16x16x32_fp8_fp8 v[12:15], a[106:107], a[10:11], v[12:15]// 000000004B70: D3F3000C 1C32156A
	buffer_load_dwordx4 a[68:71], v46, s[24:27], 0 offen offset:1024// 000000004B78: E05C1400 8086442E
	v_mfma_f32_16x16x32_fp8_fp8 v[12:15], a[108:109], a[12:13], v[12:15]// 000000004B80: D3F3000C 1C32196C
	v_mfma_f32_16x16x32_fp8_fp8 v[12:15], a[110:111], a[14:15], v[12:15]// 000000004B88: D3F3000C 1C321D6E
	v_fma_f32 v56, v8, v4, v56                                 // 000000004B90: D1CB0038 04E20908
	v_fma_f32 v57, v9, v4, v57                                 // 000000004B98: D1CB0039 04E60909
	v_fma_f32 v58, v10, v4, v58                                // 000000004BA0: D1CB003A 04EA090A
	v_fma_f32 v59, v11, v4, v59                                // 000000004BA8: D1CB003B 04EE090B
	v_mul_f32_dpp v6, v26, v37 row_newbcast:1 row_mask:0xf bank_mask:0xf// 000000004BB0: 0A0C4AFA FF01511A
	v_mfma_f32_16x16x32_fp8_fp8 v[8:11], a[112:113], a[8:9], 0 // 000000004BB8: D3F30008 1A021170
	v_mfma_f32_16x16x32_fp8_fp8 v[8:11], a[114:115], a[10:11], v[8:11]// 000000004BC0: D3F30008 1C221572
	buffer_load_dwordx4 a[72:75], v47, s[24:27], 0 offen       // 000000004BC8: E05C1000 8086482F
	v_mfma_f32_16x16x32_fp8_fp8 v[8:11], a[116:117], a[12:13], v[8:11]// 000000004BD0: D3F30008 1C221974
	v_mfma_f32_16x16x32_fp8_fp8 v[8:11], a[118:119], a[14:15], v[8:11]// 000000004BD8: D3F30008 1C221D76
	v_fma_f32 v64, v12, v4, v64                                // 000000004BE0: D1CB0040 0502090C
	v_fma_f32 v65, v13, v4, v65                                // 000000004BE8: D1CB0041 0506090D
	v_fma_f32 v66, v14, v4, v66                                // 000000004BF0: D1CB0042 050A090E
	v_fma_f32 v67, v15, v4, v67                                // 000000004BF8: D1CB0043 050E090F
	v_mfma_f32_16x16x32_fp8_fp8 v[12:15], a[120:121], a[8:9], 0// 000000004C00: D3F3000C 1A021178
	v_mfma_f32_16x16x32_fp8_fp8 v[12:15], a[122:123], a[10:11], v[12:15]// 000000004C08: D3F3000C 1C32157A
	buffer_load_dwordx4 a[76:79], v47, s[24:27], 0 offen offset:1024// 000000004C10: E05C1400 80864C2F
	v_mfma_f32_16x16x32_fp8_fp8 v[12:15], a[124:125], a[12:13], v[12:15]// 000000004C18: D3F3000C 1C32197C
	v_mfma_f32_16x16x32_fp8_fp8 v[12:15], a[126:127], a[14:15], v[12:15]// 000000004C20: D3F3000C 1C321D7E
	v_fma_f32 v72, v8, v6, v72                                 // 000000004C28: D1CB0048 05220D08
	v_fma_f32 v73, v9, v6, v73                                 // 000000004C30: D1CB0049 05260D09
	v_fma_f32 v74, v10, v6, v74                                // 000000004C38: D1CB004A 052A0D0A
	v_fma_f32 v75, v11, v6, v75                                // 000000004C40: D1CB004B 052E0D0B
	v_mul_f32_dpp v4, v26, v37 row_newbcast:2 row_mask:0xf bank_mask:0xf// 000000004C48: 0A084AFA FF01521A
	v_mfma_f32_16x16x32_fp8_fp8 v[8:11], a[128:129], a[8:9], 0 // 000000004C50: D3F30008 1A021180
	v_mfma_f32_16x16x32_fp8_fp8 v[8:11], a[130:131], a[10:11], v[8:11]// 000000004C58: D3F30008 1C221582
	buffer_load_dwordx4 a[80:83], v48, s[24:27], 0 offen       // 000000004C60: E05C1000 80865030
	v_mfma_f32_16x16x32_fp8_fp8 v[8:11], a[132:133], a[12:13], v[8:11]// 000000004C68: D3F30008 1C221984
	v_mfma_f32_16x16x32_fp8_fp8 v[8:11], a[134:135], a[14:15], v[8:11]// 000000004C70: D3F30008 1C221D86
	v_fma_f32 v80, v12, v6, v80                                // 000000004C78: D1CB0050 05420D0C
	v_fma_f32 v81, v13, v6, v81                                // 000000004C80: D1CB0051 05460D0D
	v_fma_f32 v82, v14, v6, v82                                // 000000004C88: D1CB0052 054A0D0E
	v_fma_f32 v83, v15, v6, v83                                // 000000004C90: D1CB0053 054E0D0F
	v_mfma_f32_16x16x32_fp8_fp8 v[12:15], a[136:137], a[8:9], 0// 000000004C98: D3F3000C 1A021188
	v_mfma_f32_16x16x32_fp8_fp8 v[12:15], a[138:139], a[10:11], v[12:15]// 000000004CA0: D3F3000C 1C32158A
	buffer_load_dwordx4 a[84:87], v48, s[24:27], 0 offen offset:1024// 000000004CA8: E05C1400 80865430
	v_mfma_f32_16x16x32_fp8_fp8 v[12:15], a[140:141], a[12:13], v[12:15]// 000000004CB0: D3F3000C 1C32198C
	v_mfma_f32_16x16x32_fp8_fp8 v[12:15], a[142:143], a[14:15], v[12:15]// 000000004CB8: D3F3000C 1C321D8E
	v_fma_f32 v88, v8, v4, v88                                 // 000000004CC0: D1CB0058 05620908
	v_fma_f32 v89, v9, v4, v89                                 // 000000004CC8: D1CB0059 05660909
	v_fma_f32 v90, v10, v4, v90                                // 000000004CD0: D1CB005A 056A090A
	v_fma_f32 v91, v11, v4, v91                                // 000000004CD8: D1CB005B 056E090B
	v_mul_f32_dpp v6, v26, v37 row_newbcast:3 row_mask:0xf bank_mask:0xf// 000000004CE0: 0A0C4AFA FF01531A
	v_mfma_f32_16x16x32_fp8_fp8 v[8:11], a[144:145], a[8:9], 0 // 000000004CE8: D3F30008 1A021190
	v_mfma_f32_16x16x32_fp8_fp8 v[8:11], a[146:147], a[10:11], v[8:11]// 000000004CF0: D3F30008 1C221592
	buffer_load_dwordx4 a[88:91], v49, s[24:27], 0 offen       // 000000004CF8: E05C1000 80865831
	v_mfma_f32_16x16x32_fp8_fp8 v[8:11], a[148:149], a[12:13], v[8:11]// 000000004D00: D3F30008 1C221994
	v_mfma_f32_16x16x32_fp8_fp8 v[8:11], a[150:151], a[14:15], v[8:11]// 000000004D08: D3F30008 1C221D96
	v_fma_f32 v96, v12, v4, v96                                // 000000004D10: D1CB0060 0582090C
	v_fma_f32 v97, v13, v4, v97                                // 000000004D18: D1CB0061 0586090D
	v_fma_f32 v98, v14, v4, v98                                // 000000004D20: D1CB0062 058A090E
	v_fma_f32 v99, v15, v4, v99                                // 000000004D28: D1CB0063 058E090F
	v_mfma_f32_16x16x32_fp8_fp8 v[12:15], a[152:153], a[8:9], 0// 000000004D30: D3F3000C 1A021198
	v_mfma_f32_16x16x32_fp8_fp8 v[12:15], a[154:155], a[10:11], v[12:15]// 000000004D38: D3F3000C 1C32159A
	buffer_load_dwordx4 a[92:95], v49, s[24:27], 0 offen offset:1024// 000000004D40: E05C1400 80865C31
	buffer_load_dword v38, s[20:23], 0 offen lds               // 000000004D48: E0511000 80050026
	s_add_u32 m0, 0x100, s49                                   // 000000004D50: 807C31FF 00000100
	v_mfma_f32_16x16x32_fp8_fp8 v[12:15], a[156:157], a[12:13], v[12:15]// 000000004D58: D3F3000C 1C32199C
	v_mfma_f32_16x16x32_fp8_fp8 v[12:15], a[158:159], a[14:15], v[12:15]// 000000004D60: D3F3000C 1C321D9E
	buffer_load_dword v39, s[20:23], 0 offen lds               // 000000004D68: E0511000 80050027
	s_add_u32 m0, 0x200, s49                                   // 000000004D70: 807C31FF 00000200
	v_fma_f32 v104, v8, v6, v104                               // 000000004D78: D1CB0068 05A20D08
	v_fma_f32 v105, v9, v6, v105                               // 000000004D80: D1CB0069 05A60D09
	v_fma_f32 v106, v10, v6, v106                              // 000000004D88: D1CB006A 05AA0D0A
	v_fma_f32 v107, v11, v6, v107                              // 000000004D90: D1CB006B 05AE0D0B
	v_fma_f32 v112, v12, v6, v112                              // 000000004D98: D1CB0070 05C20D0C
	v_fma_f32 v113, v13, v6, v113                              // 000000004DA0: D1CB0071 05C60D0D
	v_fma_f32 v114, v14, v6, v114                              // 000000004DA8: D1CB0072 05CA0D0E
	v_fma_f32 v115, v15, v6, v115                              // 000000004DB0: D1CB0073 05CE0D0F
	buffer_load_dword v40, s[20:23], 0 offen lds               // 000000004DB8: E0511000 80050028
	s_add_u32 m0, 0x300, s49                                   // 000000004DC0: 807C31FF 00000300
	buffer_load_dword v41, s[20:23], 0 offen lds               // 000000004DC8: E0511000 80050029
	s_add_u32 m0, 0, s50                                       // 000000004DD0: 807C3280
	buffer_load_dword v34, v30, s[28:31], 0 offen              // 000000004DD4: E0501000 8007221E
	buffer_load_dword v35, v31, s[28:31], 0 offen              // 000000004DDC: E0501000 8007231F
	s_waitcnt vmcnt(23)                                        // 000000004DE4: BF8C4F77
	s_barrier                                                  // 000000004DE8: BF8A0000
	v_mul_f32_dpp v4, v29, v36 row_newbcast:0 row_mask:0xf bank_mask:0xf// 000000004DEC: 0A0848FA FF01501D
	v_mfma_f32_16x16x32_fp8_fp8 v[8:11], a[160:161], a[0:1], 0 // 000000004DF4: D3F30008 1A0201A0
	buffer_load_dword v27, v23, s[32:35], 0 offen              // 000000004DFC: E0501000 80081B17
	v_mfma_f32_16x16x32_fp8_fp8 v[8:11], a[162:163], a[2:3], v[8:11]// 000000004E04: D3F30008 1C2205A2
	buffer_load_dwordx4 a[96:99], v42, s[84:87], 0 offen       // 000000004E0C: E05C1000 8095602A
	v_mfma_f32_16x16x32_fp8_fp8 v[8:11], a[164:165], a[4:5], v[8:11]// 000000004E14: D3F30008 1C2209A4
	v_mfma_f32_16x16x32_fp8_fp8 v[8:11], a[166:167], a[6:7], v[8:11]// 000000004E1C: D3F30008 1C220DA6
	ds_read_b128 a[16:19], v2                                  // 000000004E24: DBFE0000 10000002
	ds_read_b128 a[20:23], v2 offset:64                        // 000000004E2C: DBFE0040 14000002
	v_mfma_f32_16x16x32_fp8_fp8 v[12:15], a[168:169], a[0:1], 0// 000000004E34: D3F3000C 1A0201A8
	v_mfma_f32_16x16x32_fp8_fp8 v[12:15], a[170:171], a[2:3], v[12:15]// 000000004E3C: D3F3000C 1C3205AA
	buffer_load_dwordx4 a[100:103], v42, s[84:87], 0 offen offset:1024// 000000004E44: E05C1400 8095642A
	v_mfma_f32_16x16x32_fp8_fp8 v[12:15], a[172:173], a[4:5], v[12:15]// 000000004E4C: D3F3000C 1C3209AC
	v_mfma_f32_16x16x32_fp8_fp8 v[12:15], a[174:175], a[6:7], v[12:15]// 000000004E54: D3F3000C 1C320DAE
	ds_read_b128 a[24:27], v2 offset:512                       // 000000004E5C: DBFE0200 18000002
	ds_read_b128 a[28:31], v2 offset:576                       // 000000004E64: DBFE0240 1C000002
	v_fma_f32 v116, v8, v4, v116                               // 000000004E6C: D1CB0074 05D20908
	v_fma_f32 v117, v9, v4, v117                               // 000000004E74: D1CB0075 05D60909
	v_fma_f32 v118, v10, v4, v118                              // 000000004E7C: D1CB0076 05DA090A
	v_fma_f32 v119, v11, v4, v119                              // 000000004E84: D1CB0077 05DE090B
	v_mul_f32_dpp v6, v29, v36 row_newbcast:1 row_mask:0xf bank_mask:0xf// 000000004E8C: 0A0C48FA FF01511D
	v_mfma_f32_16x16x32_fp8_fp8 v[8:11], a[176:177], a[0:1], 0 // 000000004E94: D3F30008 1A0201B0
	v_mfma_f32_16x16x32_fp8_fp8 v[8:11], a[178:179], a[2:3], v[8:11]// 000000004E9C: D3F30008 1C2205B2
	buffer_load_dwordx4 a[104:107], v43, s[84:87], 0 offen     // 000000004EA4: E05C1000 8095682B
	v_mfma_f32_16x16x32_fp8_fp8 v[8:11], a[180:181], a[4:5], v[8:11]// 000000004EAC: D3F30008 1C2209B4
	v_mfma_f32_16x16x32_fp8_fp8 v[8:11], a[182:183], a[6:7], v[8:11]// 000000004EB4: D3F30008 1C220DB6
	v_fma_f32 v124, v12, v4, v124                              // 000000004EBC: D1CB007C 05F2090C
	v_fma_f32 v125, v13, v4, v125                              // 000000004EC4: D1CB007D 05F6090D
	v_fma_f32 v126, v14, v4, v126                              // 000000004ECC: D1CB007E 05FA090E
	v_fma_f32 v127, v15, v4, v127                              // 000000004ED4: D1CB007F 05FE090F
	v_mfma_f32_16x16x32_fp8_fp8 v[12:15], a[184:185], a[0:1], 0// 000000004EDC: D3F3000C 1A0201B8
	v_mfma_f32_16x16x32_fp8_fp8 v[12:15], a[186:187], a[2:3], v[12:15]// 000000004EE4: D3F3000C 1C3205BA
	buffer_load_dwordx4 a[108:111], v43, s[84:87], 0 offen offset:1024// 000000004EEC: E05C1400 80956C2B
	v_mfma_f32_16x16x32_fp8_fp8 v[12:15], a[188:189], a[4:5], v[12:15]// 000000004EF4: D3F3000C 1C3209BC
	v_mfma_f32_16x16x32_fp8_fp8 v[12:15], a[190:191], a[6:7], v[12:15]// 000000004EFC: D3F3000C 1C320DBE
	v_fma_f32 v132, v8, v6, v132                               // 000000004F04: D1CB0084 06120D08
	v_fma_f32 v133, v9, v6, v133                               // 000000004F0C: D1CB0085 06160D09
	v_fma_f32 v134, v10, v6, v134                              // 000000004F14: D1CB0086 061A0D0A
	v_fma_f32 v135, v11, v6, v135                              // 000000004F1C: D1CB0087 061E0D0B
	v_mul_f32_dpp v4, v29, v36 row_newbcast:2 row_mask:0xf bank_mask:0xf// 000000004F24: 0A0848FA FF01521D
	v_mfma_f32_16x16x32_fp8_fp8 v[8:11], a[192:193], a[0:1], 0 // 000000004F2C: D3F30008 1A0201C0
	v_mfma_f32_16x16x32_fp8_fp8 v[8:11], a[194:195], a[2:3], v[8:11]// 000000004F34: D3F30008 1C2205C2
	buffer_load_dwordx4 a[112:115], v44, s[84:87], 0 offen     // 000000004F3C: E05C1000 8095702C
	v_mfma_f32_16x16x32_fp8_fp8 v[8:11], a[196:197], a[4:5], v[8:11]// 000000004F44: D3F30008 1C2209C4
	v_mfma_f32_16x16x32_fp8_fp8 v[8:11], a[198:199], a[6:7], v[8:11]// 000000004F4C: D3F30008 1C220DC6
	v_fma_f32 v140, v12, v6, v140                              // 000000004F54: D1CB008C 06320D0C
	v_fma_f32 v141, v13, v6, v141                              // 000000004F5C: D1CB008D 06360D0D
	v_fma_f32 v142, v14, v6, v142                              // 000000004F64: D1CB008E 063A0D0E
	v_fma_f32 v143, v15, v6, v143                              // 000000004F6C: D1CB008F 063E0D0F
	v_mfma_f32_16x16x32_fp8_fp8 v[12:15], a[200:201], a[0:1], 0// 000000004F74: D3F3000C 1A0201C8
	v_mfma_f32_16x16x32_fp8_fp8 v[12:15], a[202:203], a[2:3], v[12:15]// 000000004F7C: D3F3000C 1C3205CA
	buffer_load_dwordx4 a[116:119], v44, s[84:87], 0 offen offset:1024// 000000004F84: E05C1400 8095742C
	v_mfma_f32_16x16x32_fp8_fp8 v[12:15], a[204:205], a[4:5], v[12:15]// 000000004F8C: D3F3000C 1C3209CC
	v_mfma_f32_16x16x32_fp8_fp8 v[12:15], a[206:207], a[6:7], v[12:15]// 000000004F94: D3F3000C 1C320DCE
	v_fma_f32 v148, v8, v4, v148                               // 000000004F9C: D1CB0094 06520908
	v_fma_f32 v149, v9, v4, v149                               // 000000004FA4: D1CB0095 06560909
	v_fma_f32 v150, v10, v4, v150                              // 000000004FAC: D1CB0096 065A090A
	v_fma_f32 v151, v11, v4, v151                              // 000000004FB4: D1CB0097 065E090B
	v_mul_f32_dpp v6, v29, v36 row_newbcast:3 row_mask:0xf bank_mask:0xf// 000000004FBC: 0A0C48FA FF01531D
	v_mfma_f32_16x16x32_fp8_fp8 v[8:11], a[208:209], a[0:1], 0 // 000000004FC4: D3F30008 1A0201D0
	v_mfma_f32_16x16x32_fp8_fp8 v[8:11], a[210:211], a[2:3], v[8:11]// 000000004FCC: D3F30008 1C2205D2
	buffer_load_dwordx4 a[120:123], v45, s[84:87], 0 offen     // 000000004FD4: E05C1000 8095782D
	v_mfma_f32_16x16x32_fp8_fp8 v[8:11], a[212:213], a[4:5], v[8:11]// 000000004FDC: D3F30008 1C2209D4
	v_mfma_f32_16x16x32_fp8_fp8 v[8:11], a[214:215], a[6:7], v[8:11]// 000000004FE4: D3F30008 1C220DD6
	v_fma_f32 v156, v12, v4, v156                              // 000000004FEC: D1CB009C 0672090C
	v_fma_f32 v157, v13, v4, v157                              // 000000004FF4: D1CB009D 0676090D
	v_fma_f32 v158, v14, v4, v158                              // 000000004FFC: D1CB009E 067A090E
	v_fma_f32 v159, v15, v4, v159                              // 000000005004: D1CB009F 067E090F
	v_mfma_f32_16x16x32_fp8_fp8 v[12:15], a[216:217], a[0:1], 0// 00000000500C: D3F3000C 1A0201D8
	v_mfma_f32_16x16x32_fp8_fp8 v[12:15], a[218:219], a[2:3], v[12:15]// 000000005014: D3F3000C 1C3205DA
	buffer_load_dwordx4 a[124:127], v45, s[84:87], 0 offen offset:1024// 00000000501C: E05C1400 80957C2D
	v_mfma_f32_16x16x32_fp8_fp8 v[12:15], a[220:221], a[4:5], v[12:15]// 000000005024: D3F3000C 1C3209DC
	v_mfma_f32_16x16x32_fp8_fp8 v[12:15], a[222:223], a[6:7], v[12:15]// 00000000502C: D3F3000C 1C320DDE
	v_fma_f32 v164, v8, v6, v164                               // 000000005034: D1CB00A4 06920D08
	v_fma_f32 v165, v9, v6, v165                               // 00000000503C: D1CB00A5 06960D09
	v_fma_f32 v166, v10, v6, v166                              // 000000005044: D1CB00A6 069A0D0A
	v_fma_f32 v167, v11, v6, v167                              // 00000000504C: D1CB00A7 069E0D0B
	v_mul_f32_dpp v4, v29, v37 row_newbcast:0 row_mask:0xf bank_mask:0xf// 000000005054: 0A084AFA FF01501D
	v_mfma_f32_16x16x32_fp8_fp8 v[8:11], a[160:161], a[8:9], 0 // 00000000505C: D3F30008 1A0211A0
	v_mfma_f32_16x16x32_fp8_fp8 v[8:11], a[162:163], a[10:11], v[8:11]// 000000005064: D3F30008 1C2215A2
	buffer_load_dwordx4 a[128:131], v46, s[84:87], 0 offen     // 00000000506C: E05C1000 8095802E
	v_mfma_f32_16x16x32_fp8_fp8 v[8:11], a[164:165], a[12:13], v[8:11]// 000000005074: D3F30008 1C2219A4
	v_mfma_f32_16x16x32_fp8_fp8 v[8:11], a[166:167], a[14:15], v[8:11]// 00000000507C: D3F30008 1C221DA6
	v_fma_f32 v172, v12, v6, v172                              // 000000005084: D1CB00AC 06B20D0C
	v_fma_f32 v173, v13, v6, v173                              // 00000000508C: D1CB00AD 06B60D0D
	v_fma_f32 v174, v14, v6, v174                              // 000000005094: D1CB00AE 06BA0D0E
	v_fma_f32 v175, v15, v6, v175                              // 00000000509C: D1CB00AF 06BE0D0F
	v_mfma_f32_16x16x32_fp8_fp8 v[12:15], a[168:169], a[8:9], 0// 0000000050A4: D3F3000C 1A0211A8
	v_mfma_f32_16x16x32_fp8_fp8 v[12:15], a[170:171], a[10:11], v[12:15]// 0000000050AC: D3F3000C 1C3215AA
	buffer_load_dwordx4 a[132:135], v46, s[84:87], 0 offen offset:1024// 0000000050B4: E05C1400 8095842E
	v_mfma_f32_16x16x32_fp8_fp8 v[12:15], a[172:173], a[12:13], v[12:15]// 0000000050BC: D3F3000C 1C3219AC
	v_mfma_f32_16x16x32_fp8_fp8 v[12:15], a[174:175], a[14:15], v[12:15]// 0000000050C4: D3F3000C 1C321DAE
	v_fma_f32 v120, v8, v4, v120                               // 0000000050CC: D1CB0078 05E20908
	v_fma_f32 v121, v9, v4, v121                               // 0000000050D4: D1CB0079 05E60909
	v_fma_f32 v122, v10, v4, v122                              // 0000000050DC: D1CB007A 05EA090A
	v_fma_f32 v123, v11, v4, v123                              // 0000000050E4: D1CB007B 05EE090B
	v_mul_f32_dpp v6, v29, v37 row_newbcast:1 row_mask:0xf bank_mask:0xf// 0000000050EC: 0A0C4AFA FF01511D
	v_mfma_f32_16x16x32_fp8_fp8 v[8:11], a[176:177], a[8:9], 0 // 0000000050F4: D3F30008 1A0211B0
	v_mfma_f32_16x16x32_fp8_fp8 v[8:11], a[178:179], a[10:11], v[8:11]// 0000000050FC: D3F30008 1C2215B2
	buffer_load_dwordx4 a[136:139], v47, s[84:87], 0 offen     // 000000005104: E05C1000 8095882F
	v_mfma_f32_16x16x32_fp8_fp8 v[8:11], a[180:181], a[12:13], v[8:11]// 00000000510C: D3F30008 1C2219B4
	v_mfma_f32_16x16x32_fp8_fp8 v[8:11], a[182:183], a[14:15], v[8:11]// 000000005114: D3F30008 1C221DB6
	v_fma_f32 v128, v12, v4, v128                              // 00000000511C: D1CB0080 0602090C
	v_fma_f32 v129, v13, v4, v129                              // 000000005124: D1CB0081 0606090D
	v_fma_f32 v130, v14, v4, v130                              // 00000000512C: D1CB0082 060A090E
	v_fma_f32 v131, v15, v4, v131                              // 000000005134: D1CB0083 060E090F
	v_mfma_f32_16x16x32_fp8_fp8 v[12:15], a[184:185], a[8:9], 0// 00000000513C: D3F3000C 1A0211B8
	v_mfma_f32_16x16x32_fp8_fp8 v[12:15], a[186:187], a[10:11], v[12:15]// 000000005144: D3F3000C 1C3215BA
	buffer_load_dwordx4 a[140:143], v47, s[84:87], 0 offen offset:1024// 00000000514C: E05C1400 80958C2F
	v_mfma_f32_16x16x32_fp8_fp8 v[12:15], a[188:189], a[12:13], v[12:15]// 000000005154: D3F3000C 1C3219BC
	v_mfma_f32_16x16x32_fp8_fp8 v[12:15], a[190:191], a[14:15], v[12:15]// 00000000515C: D3F3000C 1C321DBE
	v_fma_f32 v136, v8, v6, v136                               // 000000005164: D1CB0088 06220D08
	v_fma_f32 v137, v9, v6, v137                               // 00000000516C: D1CB0089 06260D09
	v_fma_f32 v138, v10, v6, v138                              // 000000005174: D1CB008A 062A0D0A
	v_fma_f32 v139, v11, v6, v139                              // 00000000517C: D1CB008B 062E0D0B
	v_mul_f32_dpp v4, v29, v37 row_newbcast:2 row_mask:0xf bank_mask:0xf// 000000005184: 0A084AFA FF01521D
	v_mfma_f32_16x16x32_fp8_fp8 v[8:11], a[192:193], a[8:9], 0 // 00000000518C: D3F30008 1A0211C0
	v_mfma_f32_16x16x32_fp8_fp8 v[8:11], a[194:195], a[10:11], v[8:11]// 000000005194: D3F30008 1C2215C2
	buffer_load_dwordx4 a[144:147], v48, s[84:87], 0 offen     // 00000000519C: E05C1000 80959030
	v_mfma_f32_16x16x32_fp8_fp8 v[8:11], a[196:197], a[12:13], v[8:11]// 0000000051A4: D3F30008 1C2219C4
	v_mfma_f32_16x16x32_fp8_fp8 v[8:11], a[198:199], a[14:15], v[8:11]// 0000000051AC: D3F30008 1C221DC6
	v_fma_f32 v144, v12, v6, v144                              // 0000000051B4: D1CB0090 06420D0C
	v_fma_f32 v145, v13, v6, v145                              // 0000000051BC: D1CB0091 06460D0D
	v_fma_f32 v146, v14, v6, v146                              // 0000000051C4: D1CB0092 064A0D0E
	v_fma_f32 v147, v15, v6, v147                              // 0000000051CC: D1CB0093 064E0D0F
	v_mfma_f32_16x16x32_fp8_fp8 v[12:15], a[200:201], a[8:9], 0// 0000000051D4: D3F3000C 1A0211C8
	v_mfma_f32_16x16x32_fp8_fp8 v[12:15], a[202:203], a[10:11], v[12:15]// 0000000051DC: D3F3000C 1C3215CA
	buffer_load_dwordx4 a[148:151], v48, s[84:87], 0 offen offset:1024// 0000000051E4: E05C1400 80959430
	v_mfma_f32_16x16x32_fp8_fp8 v[12:15], a[204:205], a[12:13], v[12:15]// 0000000051EC: D3F3000C 1C3219CC
	v_mfma_f32_16x16x32_fp8_fp8 v[12:15], a[206:207], a[14:15], v[12:15]// 0000000051F4: D3F3000C 1C321DCE
	v_fma_f32 v152, v8, v4, v152                               // 0000000051FC: D1CB0098 06620908
	v_fma_f32 v153, v9, v4, v153                               // 000000005204: D1CB0099 06660909
	v_fma_f32 v154, v10, v4, v154                              // 00000000520C: D1CB009A 066A090A
	v_fma_f32 v155, v11, v4, v155                              // 000000005214: D1CB009B 066E090B
	v_mul_f32_dpp v6, v29, v37 row_newbcast:3 row_mask:0xf bank_mask:0xf// 00000000521C: 0A0C4AFA FF01531D
	v_mfma_f32_16x16x32_fp8_fp8 v[8:11], a[208:209], a[8:9], 0 // 000000005224: D3F30008 1A0211D0
	s_add_u32 s60, 0x180, s80                                  // 00000000522C: 803C50FF 00000180
	s_cmp_lt_u32 s60, s81                                      // 000000005234: BF0A513C
	s_cselect_b32 s57, s57, 0                                  // 000000005238: 85398039
	s_cselect_b32 s3, s3, 0                                    // 00000000523C: 85038003
	v_mfma_f32_16x16x32_fp8_fp8 v[8:11], a[210:211], a[10:11], v[8:11]// 000000005240: D3F30008 1C2215D2
	buffer_load_dwordx4 a[152:155], v49, s[84:87], 0 offen     // 000000005248: E05C1000 80959831
	s_add_u32 s60, 0x100, s80                                  // 000000005250: 803C50FF 00000100
	s_cmp_lt_u32 s60, s81                                      // 000000005258: BF0A513C
	s_cselect_b32 s58, s58, 0                                  // 00000000525C: 853A803A
	v_mfma_f32_16x16x32_fp8_fp8 v[8:11], a[212:213], a[12:13], v[8:11]// 000000005260: D3F30008 1C2219D4
	s_add_u32 s60, 0x100, s80                                  // 000000005268: 803C50FF 00000100
	s_cmp_lt_u32 s60, s81                                      // 000000005270: BF0A513C
	s_cselect_b32 s83, s83, 0                                  // 000000005274: 85538053
	s_cselect_b32 s4, s4, 0                                    // 000000005278: 85048004
	v_mfma_f32_16x16x32_fp8_fp8 v[8:11], a[214:215], a[14:15], v[8:11]// 00000000527C: D3F30008 1C221DD6
	s_add_u32 s24, s58, s24                                    // 000000005284: 8018183A
	s_addc_u32 s25, 0, s25                                     // 000000005288: 82191980
	v_fma_f32 v160, v12, v4, v160                              // 00000000528C: D1CB00A0 0682090C
	v_fma_f32 v161, v13, v4, v161                              // 000000005294: D1CB00A1 0686090D
	v_fma_f32 v162, v14, v4, v162                              // 00000000529C: D1CB00A2 068A090E
	v_fma_f32 v163, v15, v4, v163                              // 0000000052A4: D1CB00A3 068E090F
	v_mfma_f32_16x16x32_fp8_fp8 v[12:15], a[216:217], a[8:9], 0// 0000000052AC: D3F3000C 1A0211D8
	s_add_u32 s20, s57, s20                                    // 0000000052B4: 80141439
	s_addc_u32 s21, 0, s21                                     // 0000000052B8: 82151580
	s_add_u32 s28, s3, s28                                     // 0000000052BC: 801C1C03
	s_addc_u32 s29, 0, s29                                     // 0000000052C0: 821D1D80
	v_mfma_f32_16x16x32_fp8_fp8 v[12:15], a[218:219], a[10:11], v[12:15]// 0000000052C4: D3F3000C 1C3215DA
	buffer_load_dwordx4 a[156:159], v49, s[84:87], 0 offen offset:1024// 0000000052CC: E05C1400 80959C31
	s_add_u32 s84, s83, s84                                    // 0000000052D4: 80545453
	s_addc_u32 s85, 0, s85                                     // 0000000052D8: 82555580
	v_mfma_f32_16x16x32_fp8_fp8 v[12:15], a[220:221], a[12:13], v[12:15]// 0000000052DC: D3F3000C 1C3219DC
	s_add_u32 s32, s4, s32                                     // 0000000052E4: 80202004
	s_addc_u32 s33, 0, s33                                     // 0000000052E8: 82212180
	v_mfma_f32_16x16x32_fp8_fp8 v[12:15], a[222:223], a[14:15], v[12:15]// 0000000052EC: D3F3000C 1C321DDE
	v_fma_f32 v168, v8, v6, v168                               // 0000000052F4: D1CB00A8 06A20D08
	v_fma_f32 v169, v9, v6, v169                               // 0000000052FC: D1CB00A9 06A60D09
	v_fma_f32 v170, v10, v6, v170                              // 000000005304: D1CB00AA 06AA0D0A
	v_fma_f32 v171, v11, v6, v171                              // 00000000530C: D1CB00AB 06AE0D0B
	v_fma_f32 v176, v12, v6, v176                              // 000000005314: D1CB00B0 06C20D0C
	v_fma_f32 v177, v13, v6, v177                              // 00000000531C: D1CB00B1 06C60D0D
	v_fma_f32 v178, v14, v6, v178                              // 000000005324: D1CB00B2 06CA0D0E
	v_fma_f32 v179, v15, v6, v179                              // 00000000532C: D1CB00B3 06CE0D0F
	s_addk_i32 s80, 0x80                                       // 000000005334: B7500080
	s_cmp_lt_i32 s80, s81                                      // 000000005338: BF045150
	s_cbranch_scc0 label_1228                                  // 00000000533C: BF8407D8
	s_waitcnt vmcnt(23) lgkmcnt(0)                             // 000000005340: BF8C4077
	v_mul_f32_dpp v4, v24, v32 row_newbcast:0 row_mask:0xf bank_mask:0xf// 000000005344: 0A0840FA FF015018
	v_mfma_f32_16x16x32_fp8_fp8 v[8:11], a[32:33], a[16:17], 0 // 00000000534C: D3F30008 1A022120
	buffer_load_dword v25, v22, s[32:35], 0 offen              // 000000005354: E0501000 80081916
	v_mfma_f32_16x16x32_fp8_fp8 v[8:11], a[34:35], a[18:19], v[8:11]// 00000000535C: D3F30008 1C222522
	buffer_load_dwordx4 a[160:163], v42, s[24:27], 0 offen     // 000000005364: E05C1000 8086A02A
	v_mfma_f32_16x16x32_fp8_fp8 v[8:11], a[36:37], a[20:21], v[8:11]// 00000000536C: D3F30008 1C222924
	v_mfma_f32_16x16x32_fp8_fp8 v[8:11], a[38:39], a[22:23], v[8:11]// 000000005374: D3F30008 1C222D26
	v_mfma_f32_16x16x32_fp8_fp8 v[12:15], a[40:41], a[16:17], 0// 00000000537C: D3F3000C 1A022128
	v_mfma_f32_16x16x32_fp8_fp8 v[12:15], a[42:43], a[18:19], v[12:15]// 000000005384: D3F3000C 1C32252A
	buffer_load_dwordx4 a[164:167], v42, s[24:27], 0 offen offset:1024// 00000000538C: E05C1400 8086A42A
	v_mfma_f32_16x16x32_fp8_fp8 v[12:15], a[44:45], a[20:21], v[12:15]// 000000005394: D3F3000C 1C32292C
	v_mfma_f32_16x16x32_fp8_fp8 v[12:15], a[46:47], a[22:23], v[12:15]// 00000000539C: D3F3000C 1C322D2E
	v_fma_f32 v52, v8, v4, v52                                 // 0000000053A4: D1CB0034 04D20908
	v_fma_f32 v53, v9, v4, v53                                 // 0000000053AC: D1CB0035 04D60909
	v_fma_f32 v54, v10, v4, v54                                // 0000000053B4: D1CB0036 04DA090A
	v_fma_f32 v55, v11, v4, v55                                // 0000000053BC: D1CB0037 04DE090B
	v_mul_f32_dpp v6, v24, v32 row_newbcast:1 row_mask:0xf bank_mask:0xf// 0000000053C4: 0A0C40FA FF015118
	v_mfma_f32_16x16x32_fp8_fp8 v[8:11], a[48:49], a[16:17], 0 // 0000000053CC: D3F30008 1A022130
	v_mfma_f32_16x16x32_fp8_fp8 v[8:11], a[50:51], a[18:19], v[8:11]// 0000000053D4: D3F30008 1C222532
	buffer_load_dwordx4 a[168:171], v43, s[24:27], 0 offen     // 0000000053DC: E05C1000 8086A82B
	v_mfma_f32_16x16x32_fp8_fp8 v[8:11], a[52:53], a[20:21], v[8:11]// 0000000053E4: D3F30008 1C222934
	v_mfma_f32_16x16x32_fp8_fp8 v[8:11], a[54:55], a[22:23], v[8:11]// 0000000053EC: D3F30008 1C222D36
	v_fma_f32 v60, v12, v4, v60                                // 0000000053F4: D1CB003C 04F2090C
	v_fma_f32 v61, v13, v4, v61                                // 0000000053FC: D1CB003D 04F6090D
	v_fma_f32 v62, v14, v4, v62                                // 000000005404: D1CB003E 04FA090E
	v_fma_f32 v63, v15, v4, v63                                // 00000000540C: D1CB003F 04FE090F
	v_mfma_f32_16x16x32_fp8_fp8 v[12:15], a[56:57], a[16:17], 0// 000000005414: D3F3000C 1A022138
	v_mfma_f32_16x16x32_fp8_fp8 v[12:15], a[58:59], a[18:19], v[12:15]// 00000000541C: D3F3000C 1C32253A
	buffer_load_dwordx4 a[172:175], v43, s[24:27], 0 offen offset:1024// 000000005424: E05C1400 8086AC2B
	v_mfma_f32_16x16x32_fp8_fp8 v[12:15], a[60:61], a[20:21], v[12:15]// 00000000542C: D3F3000C 1C32293C
	v_mfma_f32_16x16x32_fp8_fp8 v[12:15], a[62:63], a[22:23], v[12:15]// 000000005434: D3F3000C 1C322D3E
	v_fma_f32 v68, v8, v6, v68                                 // 00000000543C: D1CB0044 05120D08
	v_fma_f32 v69, v9, v6, v69                                 // 000000005444: D1CB0045 05160D09
	v_fma_f32 v70, v10, v6, v70                                // 00000000544C: D1CB0046 051A0D0A
	v_fma_f32 v71, v11, v6, v71                                // 000000005454: D1CB0047 051E0D0B
	v_mul_f32_dpp v4, v24, v32 row_newbcast:2 row_mask:0xf bank_mask:0xf// 00000000545C: 0A0840FA FF015218
	v_mfma_f32_16x16x32_fp8_fp8 v[8:11], a[64:65], a[16:17], 0 // 000000005464: D3F30008 1A022140
	v_mfma_f32_16x16x32_fp8_fp8 v[8:11], a[66:67], a[18:19], v[8:11]// 00000000546C: D3F30008 1C222542
	buffer_load_dwordx4 a[176:179], v44, s[24:27], 0 offen     // 000000005474: E05C1000 8086B02C
	v_mfma_f32_16x16x32_fp8_fp8 v[8:11], a[68:69], a[20:21], v[8:11]// 00000000547C: D3F30008 1C222944
	v_mfma_f32_16x16x32_fp8_fp8 v[8:11], a[70:71], a[22:23], v[8:11]// 000000005484: D3F30008 1C222D46
	v_fma_f32 v76, v12, v6, v76                                // 00000000548C: D1CB004C 05320D0C
	v_fma_f32 v77, v13, v6, v77                                // 000000005494: D1CB004D 05360D0D
	v_fma_f32 v78, v14, v6, v78                                // 00000000549C: D1CB004E 053A0D0E
	v_fma_f32 v79, v15, v6, v79                                // 0000000054A4: D1CB004F 053E0D0F
	v_mfma_f32_16x16x32_fp8_fp8 v[12:15], a[72:73], a[16:17], 0// 0000000054AC: D3F3000C 1A022148
	v_mfma_f32_16x16x32_fp8_fp8 v[12:15], a[74:75], a[18:19], v[12:15]// 0000000054B4: D3F3000C 1C32254A
	buffer_load_dwordx4 a[180:183], v44, s[24:27], 0 offen offset:1024// 0000000054BC: E05C1400 8086B42C
	v_mfma_f32_16x16x32_fp8_fp8 v[12:15], a[76:77], a[20:21], v[12:15]// 0000000054C4: D3F3000C 1C32294C
	v_mfma_f32_16x16x32_fp8_fp8 v[12:15], a[78:79], a[22:23], v[12:15]// 0000000054CC: D3F3000C 1C322D4E
	v_fma_f32 v84, v8, v4, v84                                 // 0000000054D4: D1CB0054 05520908
	v_fma_f32 v85, v9, v4, v85                                 // 0000000054DC: D1CB0055 05560909
	v_fma_f32 v86, v10, v4, v86                                // 0000000054E4: D1CB0056 055A090A
	v_fma_f32 v87, v11, v4, v87                                // 0000000054EC: D1CB0057 055E090B
	v_mul_f32_dpp v6, v24, v32 row_newbcast:3 row_mask:0xf bank_mask:0xf// 0000000054F4: 0A0C40FA FF015318
	v_mfma_f32_16x16x32_fp8_fp8 v[8:11], a[80:81], a[16:17], 0 // 0000000054FC: D3F30008 1A022150
	v_mfma_f32_16x16x32_fp8_fp8 v[8:11], a[82:83], a[18:19], v[8:11]// 000000005504: D3F30008 1C222552
	buffer_load_dwordx4 a[184:187], v45, s[24:27], 0 offen     // 00000000550C: E05C1000 8086B82D
	v_mfma_f32_16x16x32_fp8_fp8 v[8:11], a[84:85], a[20:21], v[8:11]// 000000005514: D3F30008 1C222954
	v_mfma_f32_16x16x32_fp8_fp8 v[8:11], a[86:87], a[22:23], v[8:11]// 00000000551C: D3F30008 1C222D56
	v_fma_f32 v92, v12, v4, v92                                // 000000005524: D1CB005C 0572090C
	v_fma_f32 v93, v13, v4, v93                                // 00000000552C: D1CB005D 0576090D
	v_fma_f32 v94, v14, v4, v94                                // 000000005534: D1CB005E 057A090E
	v_fma_f32 v95, v15, v4, v95                                // 00000000553C: D1CB005F 057E090F
	v_mfma_f32_16x16x32_fp8_fp8 v[12:15], a[88:89], a[16:17], 0// 000000005544: D3F3000C 1A022158
	v_mfma_f32_16x16x32_fp8_fp8 v[12:15], a[90:91], a[18:19], v[12:15]// 00000000554C: D3F3000C 1C32255A
	buffer_load_dwordx4 a[188:191], v45, s[24:27], 0 offen offset:1024// 000000005554: E05C1400 8086BC2D
	v_mfma_f32_16x16x32_fp8_fp8 v[12:15], a[92:93], a[20:21], v[12:15]// 00000000555C: D3F3000C 1C32295C
	v_mfma_f32_16x16x32_fp8_fp8 v[12:15], a[94:95], a[22:23], v[12:15]// 000000005564: D3F3000C 1C322D5E
	v_fma_f32 v100, v8, v6, v100                               // 00000000556C: D1CB0064 05920D08
	v_fma_f32 v101, v9, v6, v101                               // 000000005574: D1CB0065 05960D09
	v_fma_f32 v102, v10, v6, v102                              // 00000000557C: D1CB0066 059A0D0A
	v_fma_f32 v103, v11, v6, v103                              // 000000005584: D1CB0067 059E0D0B
	v_mul_f32_dpp v4, v24, v33 row_newbcast:0 row_mask:0xf bank_mask:0xf// 00000000558C: 0A0842FA FF015018
	v_mfma_f32_16x16x32_fp8_fp8 v[8:11], a[32:33], a[24:25], 0 // 000000005594: D3F30008 1A023120
	v_mfma_f32_16x16x32_fp8_fp8 v[8:11], a[34:35], a[26:27], v[8:11]// 00000000559C: D3F30008 1C223522
	buffer_load_dwordx4 a[192:195], v46, s[24:27], 0 offen     // 0000000055A4: E05C1000 8086C02E
	v_mfma_f32_16x16x32_fp8_fp8 v[8:11], a[36:37], a[28:29], v[8:11]// 0000000055AC: D3F30008 1C223924
	v_mfma_f32_16x16x32_fp8_fp8 v[8:11], a[38:39], a[30:31], v[8:11]// 0000000055B4: D3F30008 1C223D26
	v_fma_f32 v108, v12, v6, v108                              // 0000000055BC: D1CB006C 05B20D0C
	v_fma_f32 v109, v13, v6, v109                              // 0000000055C4: D1CB006D 05B60D0D
	v_fma_f32 v110, v14, v6, v110                              // 0000000055CC: D1CB006E 05BA0D0E
	v_fma_f32 v111, v15, v6, v111                              // 0000000055D4: D1CB006F 05BE0D0F
	v_mfma_f32_16x16x32_fp8_fp8 v[12:15], a[40:41], a[24:25], 0// 0000000055DC: D3F3000C 1A023128
	v_mfma_f32_16x16x32_fp8_fp8 v[12:15], a[42:43], a[26:27], v[12:15]// 0000000055E4: D3F3000C 1C32352A
	buffer_load_dwordx4 a[196:199], v46, s[24:27], 0 offen offset:1024// 0000000055EC: E05C1400 8086C42E
	v_mfma_f32_16x16x32_fp8_fp8 v[12:15], a[44:45], a[28:29], v[12:15]// 0000000055F4: D3F3000C 1C32392C
	v_mfma_f32_16x16x32_fp8_fp8 v[12:15], a[46:47], a[30:31], v[12:15]// 0000000055FC: D3F3000C 1C323D2E
	v_fma_f32 v56, v8, v4, v56                                 // 000000005604: D1CB0038 04E20908
	v_fma_f32 v57, v9, v4, v57                                 // 00000000560C: D1CB0039 04E60909
	v_fma_f32 v58, v10, v4, v58                                // 000000005614: D1CB003A 04EA090A
	v_fma_f32 v59, v11, v4, v59                                // 00000000561C: D1CB003B 04EE090B
	v_mul_f32_dpp v6, v24, v33 row_newbcast:1 row_mask:0xf bank_mask:0xf// 000000005624: 0A0C42FA FF015118
	v_mfma_f32_16x16x32_fp8_fp8 v[8:11], a[48:49], a[24:25], 0 // 00000000562C: D3F30008 1A023130
	v_mfma_f32_16x16x32_fp8_fp8 v[8:11], a[50:51], a[26:27], v[8:11]// 000000005634: D3F30008 1C223532
	buffer_load_dwordx4 a[200:203], v47, s[24:27], 0 offen     // 00000000563C: E05C1000 8086C82F
	v_mfma_f32_16x16x32_fp8_fp8 v[8:11], a[52:53], a[28:29], v[8:11]// 000000005644: D3F30008 1C223934
	v_mfma_f32_16x16x32_fp8_fp8 v[8:11], a[54:55], a[30:31], v[8:11]// 00000000564C: D3F30008 1C223D36
	v_fma_f32 v64, v12, v4, v64                                // 000000005654: D1CB0040 0502090C
	v_fma_f32 v65, v13, v4, v65                                // 00000000565C: D1CB0041 0506090D
	v_fma_f32 v66, v14, v4, v66                                // 000000005664: D1CB0042 050A090E
	v_fma_f32 v67, v15, v4, v67                                // 00000000566C: D1CB0043 050E090F
	v_mfma_f32_16x16x32_fp8_fp8 v[12:15], a[56:57], a[24:25], 0// 000000005674: D3F3000C 1A023138
	v_mfma_f32_16x16x32_fp8_fp8 v[12:15], a[58:59], a[26:27], v[12:15]// 00000000567C: D3F3000C 1C32353A
	buffer_load_dwordx4 a[204:207], v47, s[24:27], 0 offen offset:1024// 000000005684: E05C1400 8086CC2F
	v_mfma_f32_16x16x32_fp8_fp8 v[12:15], a[60:61], a[28:29], v[12:15]// 00000000568C: D3F3000C 1C32393C
	v_mfma_f32_16x16x32_fp8_fp8 v[12:15], a[62:63], a[30:31], v[12:15]// 000000005694: D3F3000C 1C323D3E
	v_fma_f32 v72, v8, v6, v72                                 // 00000000569C: D1CB0048 05220D08
	v_fma_f32 v73, v9, v6, v73                                 // 0000000056A4: D1CB0049 05260D09
	v_fma_f32 v74, v10, v6, v74                                // 0000000056AC: D1CB004A 052A0D0A
	v_fma_f32 v75, v11, v6, v75                                // 0000000056B4: D1CB004B 052E0D0B
	v_mul_f32_dpp v4, v24, v33 row_newbcast:2 row_mask:0xf bank_mask:0xf// 0000000056BC: 0A0842FA FF015218
	v_mfma_f32_16x16x32_fp8_fp8 v[8:11], a[64:65], a[24:25], 0 // 0000000056C4: D3F30008 1A023140
	v_mfma_f32_16x16x32_fp8_fp8 v[8:11], a[66:67], a[26:27], v[8:11]// 0000000056CC: D3F30008 1C223542
	buffer_load_dwordx4 a[208:211], v48, s[24:27], 0 offen     // 0000000056D4: E05C1000 8086D030
	v_mfma_f32_16x16x32_fp8_fp8 v[8:11], a[68:69], a[28:29], v[8:11]// 0000000056DC: D3F30008 1C223944
	v_mfma_f32_16x16x32_fp8_fp8 v[8:11], a[70:71], a[30:31], v[8:11]// 0000000056E4: D3F30008 1C223D46
	v_fma_f32 v80, v12, v6, v80                                // 0000000056EC: D1CB0050 05420D0C
	v_fma_f32 v81, v13, v6, v81                                // 0000000056F4: D1CB0051 05460D0D
	v_fma_f32 v82, v14, v6, v82                                // 0000000056FC: D1CB0052 054A0D0E
	v_fma_f32 v83, v15, v6, v83                                // 000000005704: D1CB0053 054E0D0F
	v_mfma_f32_16x16x32_fp8_fp8 v[12:15], a[72:73], a[24:25], 0// 00000000570C: D3F3000C 1A023148
	v_mfma_f32_16x16x32_fp8_fp8 v[12:15], a[74:75], a[26:27], v[12:15]// 000000005714: D3F3000C 1C32354A
	buffer_load_dwordx4 a[212:215], v48, s[24:27], 0 offen offset:1024// 00000000571C: E05C1400 8086D430
	v_mfma_f32_16x16x32_fp8_fp8 v[12:15], a[76:77], a[28:29], v[12:15]// 000000005724: D3F3000C 1C32394C
	v_mfma_f32_16x16x32_fp8_fp8 v[12:15], a[78:79], a[30:31], v[12:15]// 00000000572C: D3F3000C 1C323D4E
	v_fma_f32 v88, v8, v4, v88                                 // 000000005734: D1CB0058 05620908
	v_fma_f32 v89, v9, v4, v89                                 // 00000000573C: D1CB0059 05660909
	v_fma_f32 v90, v10, v4, v90                                // 000000005744: D1CB005A 056A090A
	v_fma_f32 v91, v11, v4, v91                                // 00000000574C: D1CB005B 056E090B
	v_mul_f32_dpp v6, v24, v33 row_newbcast:3 row_mask:0xf bank_mask:0xf// 000000005754: 0A0C42FA FF015318
	v_mfma_f32_16x16x32_fp8_fp8 v[8:11], a[80:81], a[24:25], 0 // 00000000575C: D3F30008 1A023150
	v_mfma_f32_16x16x32_fp8_fp8 v[8:11], a[82:83], a[26:27], v[8:11]// 000000005764: D3F30008 1C223552
	buffer_load_dwordx4 a[216:219], v49, s[24:27], 0 offen     // 00000000576C: E05C1000 8086D831
	v_mfma_f32_16x16x32_fp8_fp8 v[8:11], a[84:85], a[28:29], v[8:11]// 000000005774: D3F30008 1C223954
	v_mfma_f32_16x16x32_fp8_fp8 v[8:11], a[86:87], a[30:31], v[8:11]// 00000000577C: D3F30008 1C223D56
	v_fma_f32 v96, v12, v4, v96                                // 000000005784: D1CB0060 0582090C
	v_fma_f32 v97, v13, v4, v97                                // 00000000578C: D1CB0061 0586090D
	v_fma_f32 v98, v14, v4, v98                                // 000000005794: D1CB0062 058A090E
	v_fma_f32 v99, v15, v4, v99                                // 00000000579C: D1CB0063 058E090F
	v_mfma_f32_16x16x32_fp8_fp8 v[12:15], a[88:89], a[24:25], 0// 0000000057A4: D3F3000C 1A023158
	v_mfma_f32_16x16x32_fp8_fp8 v[12:15], a[90:91], a[26:27], v[12:15]// 0000000057AC: D3F3000C 1C32355A
	buffer_load_dwordx4 a[220:223], v49, s[24:27], 0 offen offset:1024// 0000000057B4: E05C1400 8086DC31
	buffer_load_dword v38, s[20:23], 0 offen lds               // 0000000057BC: E0511000 80050026
	s_add_u32 m0, 0x100, s50                                   // 0000000057C4: 807C32FF 00000100
	v_mfma_f32_16x16x32_fp8_fp8 v[12:15], a[92:93], a[28:29], v[12:15]// 0000000057CC: D3F3000C 1C32395C
	v_mfma_f32_16x16x32_fp8_fp8 v[12:15], a[94:95], a[30:31], v[12:15]// 0000000057D4: D3F3000C 1C323D5E
	buffer_load_dword v39, s[20:23], 0 offen lds               // 0000000057DC: E0511000 80050027
	s_add_u32 m0, 0x200, s50                                   // 0000000057E4: 807C32FF 00000200
	v_fma_f32 v104, v8, v6, v104                               // 0000000057EC: D1CB0068 05A20D08
	v_fma_f32 v105, v9, v6, v105                               // 0000000057F4: D1CB0069 05A60D09
	v_fma_f32 v106, v10, v6, v106                              // 0000000057FC: D1CB006A 05AA0D0A
	v_fma_f32 v107, v11, v6, v107                              // 000000005804: D1CB006B 05AE0D0B
	v_fma_f32 v112, v12, v6, v112                              // 00000000580C: D1CB0070 05C20D0C
	v_fma_f32 v113, v13, v6, v113                              // 000000005814: D1CB0071 05C60D0D
	v_fma_f32 v114, v14, v6, v114                              // 00000000581C: D1CB0072 05CA0D0E
	v_fma_f32 v115, v15, v6, v115                              // 000000005824: D1CB0073 05CE0D0F
	buffer_load_dword v40, s[20:23], 0 offen lds               // 00000000582C: E0511000 80050028
	s_add_u32 m0, 0x300, s50                                   // 000000005834: 807C32FF 00000300
	buffer_load_dword v41, s[20:23], 0 offen lds               // 00000000583C: E0511000 80050029
	s_add_u32 m0, 0, s48                                       // 000000005844: 807C3080
	buffer_load_dword v36, v30, s[28:31], 0 offen              // 000000005848: E0501000 8007241E
	buffer_load_dword v37, v31, s[28:31], 0 offen              // 000000005850: E0501000 8007251F
	s_waitcnt vmcnt(23)                                        // 000000005858: BF8C4F77
	s_barrier                                                  // 00000000585C: BF8A0000
	v_mul_f32_dpp v4, v27, v32 row_newbcast:0 row_mask:0xf bank_mask:0xf// 000000005860: 0A0840FA FF01501B
	v_mfma_f32_16x16x32_fp8_fp8 v[8:11], a[96:97], a[16:17], 0 // 000000005868: D3F30008 1A022160
	buffer_load_dword v28, v23, s[32:35], 0 offen              // 000000005870: E0501000 80081C17
	v_mfma_f32_16x16x32_fp8_fp8 v[8:11], a[98:99], a[18:19], v[8:11]// 000000005878: D3F30008 1C222562
	buffer_load_dwordx4 a[32:35], v42, s[84:87], 0 offen       // 000000005880: E05C1000 8095202A
	v_mfma_f32_16x16x32_fp8_fp8 v[8:11], a[100:101], a[20:21], v[8:11]// 000000005888: D3F30008 1C222964
	v_mfma_f32_16x16x32_fp8_fp8 v[8:11], a[102:103], a[22:23], v[8:11]// 000000005890: D3F30008 1C222D66
	ds_read_b128 a[0:3], v2 offset:4224                        // 000000005898: DBFE1080 00000002
	ds_read_b128 a[4:7], v2 offset:4288                        // 0000000058A0: DBFE10C0 04000002
	v_mfma_f32_16x16x32_fp8_fp8 v[12:15], a[104:105], a[16:17], 0// 0000000058A8: D3F3000C 1A022168
	v_mfma_f32_16x16x32_fp8_fp8 v[12:15], a[106:107], a[18:19], v[12:15]// 0000000058B0: D3F3000C 1C32256A
	buffer_load_dwordx4 a[36:39], v42, s[84:87], 0 offen offset:1024// 0000000058B8: E05C1400 8095242A
	v_mfma_f32_16x16x32_fp8_fp8 v[12:15], a[108:109], a[20:21], v[12:15]// 0000000058C0: D3F3000C 1C32296C
	v_mfma_f32_16x16x32_fp8_fp8 v[12:15], a[110:111], a[22:23], v[12:15]// 0000000058C8: D3F3000C 1C322D6E
	ds_read_b128 a[8:11], v2 offset:4736                       // 0000000058D0: DBFE1280 08000002
	ds_read_b128 a[12:15], v2 offset:4800                      // 0000000058D8: DBFE12C0 0C000002
	v_fma_f32 v116, v8, v4, v116                               // 0000000058E0: D1CB0074 05D20908
	v_fma_f32 v117, v9, v4, v117                               // 0000000058E8: D1CB0075 05D60909
	v_fma_f32 v118, v10, v4, v118                              // 0000000058F0: D1CB0076 05DA090A
	v_fma_f32 v119, v11, v4, v119                              // 0000000058F8: D1CB0077 05DE090B
	v_mul_f32_dpp v6, v27, v32 row_newbcast:1 row_mask:0xf bank_mask:0xf// 000000005900: 0A0C40FA FF01511B
	v_mfma_f32_16x16x32_fp8_fp8 v[8:11], a[112:113], a[16:17], 0// 000000005908: D3F30008 1A022170
	v_mfma_f32_16x16x32_fp8_fp8 v[8:11], a[114:115], a[18:19], v[8:11]// 000000005910: D3F30008 1C222572
	buffer_load_dwordx4 a[40:43], v43, s[84:87], 0 offen       // 000000005918: E05C1000 8095282B
	v_mfma_f32_16x16x32_fp8_fp8 v[8:11], a[116:117], a[20:21], v[8:11]// 000000005920: D3F30008 1C222974
	v_mfma_f32_16x16x32_fp8_fp8 v[8:11], a[118:119], a[22:23], v[8:11]// 000000005928: D3F30008 1C222D76
	v_fma_f32 v124, v12, v4, v124                              // 000000005930: D1CB007C 05F2090C
	v_fma_f32 v125, v13, v4, v125                              // 000000005938: D1CB007D 05F6090D
	v_fma_f32 v126, v14, v4, v126                              // 000000005940: D1CB007E 05FA090E
	v_fma_f32 v127, v15, v4, v127                              // 000000005948: D1CB007F 05FE090F
	v_mfma_f32_16x16x32_fp8_fp8 v[12:15], a[120:121], a[16:17], 0// 000000005950: D3F3000C 1A022178
	v_mfma_f32_16x16x32_fp8_fp8 v[12:15], a[122:123], a[18:19], v[12:15]// 000000005958: D3F3000C 1C32257A
	buffer_load_dwordx4 a[44:47], v43, s[84:87], 0 offen offset:1024// 000000005960: E05C1400 80952C2B
	v_mfma_f32_16x16x32_fp8_fp8 v[12:15], a[124:125], a[20:21], v[12:15]// 000000005968: D3F3000C 1C32297C
	v_mfma_f32_16x16x32_fp8_fp8 v[12:15], a[126:127], a[22:23], v[12:15]// 000000005970: D3F3000C 1C322D7E
	v_fma_f32 v132, v8, v6, v132                               // 000000005978: D1CB0084 06120D08
	v_fma_f32 v133, v9, v6, v133                               // 000000005980: D1CB0085 06160D09
	v_fma_f32 v134, v10, v6, v134                              // 000000005988: D1CB0086 061A0D0A
	v_fma_f32 v135, v11, v6, v135                              // 000000005990: D1CB0087 061E0D0B
	v_mul_f32_dpp v4, v27, v32 row_newbcast:2 row_mask:0xf bank_mask:0xf// 000000005998: 0A0840FA FF01521B
	v_mfma_f32_16x16x32_fp8_fp8 v[8:11], a[128:129], a[16:17], 0// 0000000059A0: D3F30008 1A022180
	v_mfma_f32_16x16x32_fp8_fp8 v[8:11], a[130:131], a[18:19], v[8:11]// 0000000059A8: D3F30008 1C222582
	buffer_load_dwordx4 a[48:51], v44, s[84:87], 0 offen       // 0000000059B0: E05C1000 8095302C
	v_mfma_f32_16x16x32_fp8_fp8 v[8:11], a[132:133], a[20:21], v[8:11]// 0000000059B8: D3F30008 1C222984
	v_mfma_f32_16x16x32_fp8_fp8 v[8:11], a[134:135], a[22:23], v[8:11]// 0000000059C0: D3F30008 1C222D86
	v_fma_f32 v140, v12, v6, v140                              // 0000000059C8: D1CB008C 06320D0C
	v_fma_f32 v141, v13, v6, v141                              // 0000000059D0: D1CB008D 06360D0D
	v_fma_f32 v142, v14, v6, v142                              // 0000000059D8: D1CB008E 063A0D0E
	v_fma_f32 v143, v15, v6, v143                              // 0000000059E0: D1CB008F 063E0D0F
	v_mfma_f32_16x16x32_fp8_fp8 v[12:15], a[136:137], a[16:17], 0// 0000000059E8: D3F3000C 1A022188
	v_mfma_f32_16x16x32_fp8_fp8 v[12:15], a[138:139], a[18:19], v[12:15]// 0000000059F0: D3F3000C 1C32258A
	buffer_load_dwordx4 a[52:55], v44, s[84:87], 0 offen offset:1024// 0000000059F8: E05C1400 8095342C
	v_mfma_f32_16x16x32_fp8_fp8 v[12:15], a[140:141], a[20:21], v[12:15]// 000000005A00: D3F3000C 1C32298C
	v_mfma_f32_16x16x32_fp8_fp8 v[12:15], a[142:143], a[22:23], v[12:15]// 000000005A08: D3F3000C 1C322D8E
	v_fma_f32 v148, v8, v4, v148                               // 000000005A10: D1CB0094 06520908
	v_fma_f32 v149, v9, v4, v149                               // 000000005A18: D1CB0095 06560909
	v_fma_f32 v150, v10, v4, v150                              // 000000005A20: D1CB0096 065A090A
	v_fma_f32 v151, v11, v4, v151                              // 000000005A28: D1CB0097 065E090B
	v_mul_f32_dpp v6, v27, v32 row_newbcast:3 row_mask:0xf bank_mask:0xf// 000000005A30: 0A0C40FA FF01531B
	v_mfma_f32_16x16x32_fp8_fp8 v[8:11], a[144:145], a[16:17], 0// 000000005A38: D3F30008 1A022190
	v_mfma_f32_16x16x32_fp8_fp8 v[8:11], a[146:147], a[18:19], v[8:11]// 000000005A40: D3F30008 1C222592
	buffer_load_dwordx4 a[56:59], v45, s[84:87], 0 offen       // 000000005A48: E05C1000 8095382D
	v_mfma_f32_16x16x32_fp8_fp8 v[8:11], a[148:149], a[20:21], v[8:11]// 000000005A50: D3F30008 1C222994
	v_mfma_f32_16x16x32_fp8_fp8 v[8:11], a[150:151], a[22:23], v[8:11]// 000000005A58: D3F30008 1C222D96
	v_fma_f32 v156, v12, v4, v156                              // 000000005A60: D1CB009C 0672090C
	v_fma_f32 v157, v13, v4, v157                              // 000000005A68: D1CB009D 0676090D
	v_fma_f32 v158, v14, v4, v158                              // 000000005A70: D1CB009E 067A090E
	v_fma_f32 v159, v15, v4, v159                              // 000000005A78: D1CB009F 067E090F
	v_mfma_f32_16x16x32_fp8_fp8 v[12:15], a[152:153], a[16:17], 0// 000000005A80: D3F3000C 1A022198
	v_mfma_f32_16x16x32_fp8_fp8 v[12:15], a[154:155], a[18:19], v[12:15]// 000000005A88: D3F3000C 1C32259A
	buffer_load_dwordx4 a[60:63], v45, s[84:87], 0 offen offset:1024// 000000005A90: E05C1400 80953C2D
	v_mfma_f32_16x16x32_fp8_fp8 v[12:15], a[156:157], a[20:21], v[12:15]// 000000005A98: D3F3000C 1C32299C
	v_mfma_f32_16x16x32_fp8_fp8 v[12:15], a[158:159], a[22:23], v[12:15]// 000000005AA0: D3F3000C 1C322D9E
	v_fma_f32 v164, v8, v6, v164                               // 000000005AA8: D1CB00A4 06920D08
	v_fma_f32 v165, v9, v6, v165                               // 000000005AB0: D1CB00A5 06960D09
	v_fma_f32 v166, v10, v6, v166                              // 000000005AB8: D1CB00A6 069A0D0A
	v_fma_f32 v167, v11, v6, v167                              // 000000005AC0: D1CB00A7 069E0D0B
	v_mul_f32_dpp v4, v27, v33 row_newbcast:0 row_mask:0xf bank_mask:0xf// 000000005AC8: 0A0842FA FF01501B
	v_mfma_f32_16x16x32_fp8_fp8 v[8:11], a[96:97], a[24:25], 0 // 000000005AD0: D3F30008 1A023160
	v_mfma_f32_16x16x32_fp8_fp8 v[8:11], a[98:99], a[26:27], v[8:11]// 000000005AD8: D3F30008 1C223562
	buffer_load_dwordx4 a[64:67], v46, s[84:87], 0 offen       // 000000005AE0: E05C1000 8095402E
	v_mfma_f32_16x16x32_fp8_fp8 v[8:11], a[100:101], a[28:29], v[8:11]// 000000005AE8: D3F30008 1C223964
	v_mfma_f32_16x16x32_fp8_fp8 v[8:11], a[102:103], a[30:31], v[8:11]// 000000005AF0: D3F30008 1C223D66
	v_fma_f32 v172, v12, v6, v172                              // 000000005AF8: D1CB00AC 06B20D0C
	v_fma_f32 v173, v13, v6, v173                              // 000000005B00: D1CB00AD 06B60D0D
	v_fma_f32 v174, v14, v6, v174                              // 000000005B08: D1CB00AE 06BA0D0E
	v_fma_f32 v175, v15, v6, v175                              // 000000005B10: D1CB00AF 06BE0D0F
	v_mfma_f32_16x16x32_fp8_fp8 v[12:15], a[104:105], a[24:25], 0// 000000005B18: D3F3000C 1A023168
	v_mfma_f32_16x16x32_fp8_fp8 v[12:15], a[106:107], a[26:27], v[12:15]// 000000005B20: D3F3000C 1C32356A
	buffer_load_dwordx4 a[68:71], v46, s[84:87], 0 offen offset:1024// 000000005B28: E05C1400 8095442E
	v_mfma_f32_16x16x32_fp8_fp8 v[12:15], a[108:109], a[28:29], v[12:15]// 000000005B30: D3F3000C 1C32396C
	v_mfma_f32_16x16x32_fp8_fp8 v[12:15], a[110:111], a[30:31], v[12:15]// 000000005B38: D3F3000C 1C323D6E
	v_fma_f32 v120, v8, v4, v120                               // 000000005B40: D1CB0078 05E20908
	v_fma_f32 v121, v9, v4, v121                               // 000000005B48: D1CB0079 05E60909
	v_fma_f32 v122, v10, v4, v122                              // 000000005B50: D1CB007A 05EA090A
	v_fma_f32 v123, v11, v4, v123                              // 000000005B58: D1CB007B 05EE090B
	v_mul_f32_dpp v6, v27, v33 row_newbcast:1 row_mask:0xf bank_mask:0xf// 000000005B60: 0A0C42FA FF01511B
	v_mfma_f32_16x16x32_fp8_fp8 v[8:11], a[112:113], a[24:25], 0// 000000005B68: D3F30008 1A023170
	v_mfma_f32_16x16x32_fp8_fp8 v[8:11], a[114:115], a[26:27], v[8:11]// 000000005B70: D3F30008 1C223572
	buffer_load_dwordx4 a[72:75], v47, s[84:87], 0 offen       // 000000005B78: E05C1000 8095482F
	v_mfma_f32_16x16x32_fp8_fp8 v[8:11], a[116:117], a[28:29], v[8:11]// 000000005B80: D3F30008 1C223974
	v_mfma_f32_16x16x32_fp8_fp8 v[8:11], a[118:119], a[30:31], v[8:11]// 000000005B88: D3F30008 1C223D76
	v_fma_f32 v128, v12, v4, v128                              // 000000005B90: D1CB0080 0602090C
	v_fma_f32 v129, v13, v4, v129                              // 000000005B98: D1CB0081 0606090D
	v_fma_f32 v130, v14, v4, v130                              // 000000005BA0: D1CB0082 060A090E
	v_fma_f32 v131, v15, v4, v131                              // 000000005BA8: D1CB0083 060E090F
	v_mfma_f32_16x16x32_fp8_fp8 v[12:15], a[120:121], a[24:25], 0// 000000005BB0: D3F3000C 1A023178
	v_mfma_f32_16x16x32_fp8_fp8 v[12:15], a[122:123], a[26:27], v[12:15]// 000000005BB8: D3F3000C 1C32357A
	buffer_load_dwordx4 a[76:79], v47, s[84:87], 0 offen offset:1024// 000000005BC0: E05C1400 80954C2F
	v_mfma_f32_16x16x32_fp8_fp8 v[12:15], a[124:125], a[28:29], v[12:15]// 000000005BC8: D3F3000C 1C32397C
	v_mfma_f32_16x16x32_fp8_fp8 v[12:15], a[126:127], a[30:31], v[12:15]// 000000005BD0: D3F3000C 1C323D7E
	v_fma_f32 v136, v8, v6, v136                               // 000000005BD8: D1CB0088 06220D08
	v_fma_f32 v137, v9, v6, v137                               // 000000005BE0: D1CB0089 06260D09
	v_fma_f32 v138, v10, v6, v138                              // 000000005BE8: D1CB008A 062A0D0A
	v_fma_f32 v139, v11, v6, v139                              // 000000005BF0: D1CB008B 062E0D0B
	v_mul_f32_dpp v4, v27, v33 row_newbcast:2 row_mask:0xf bank_mask:0xf// 000000005BF8: 0A0842FA FF01521B
	v_mfma_f32_16x16x32_fp8_fp8 v[8:11], a[128:129], a[24:25], 0// 000000005C00: D3F30008 1A023180
	v_mfma_f32_16x16x32_fp8_fp8 v[8:11], a[130:131], a[26:27], v[8:11]// 000000005C08: D3F30008 1C223582
	buffer_load_dwordx4 a[80:83], v48, s[84:87], 0 offen       // 000000005C10: E05C1000 80955030
	v_mfma_f32_16x16x32_fp8_fp8 v[8:11], a[132:133], a[28:29], v[8:11]// 000000005C18: D3F30008 1C223984
	v_mfma_f32_16x16x32_fp8_fp8 v[8:11], a[134:135], a[30:31], v[8:11]// 000000005C20: D3F30008 1C223D86
	v_fma_f32 v144, v12, v6, v144                              // 000000005C28: D1CB0090 06420D0C
	v_fma_f32 v145, v13, v6, v145                              // 000000005C30: D1CB0091 06460D0D
	v_fma_f32 v146, v14, v6, v146                              // 000000005C38: D1CB0092 064A0D0E
	v_fma_f32 v147, v15, v6, v147                              // 000000005C40: D1CB0093 064E0D0F
	v_mfma_f32_16x16x32_fp8_fp8 v[12:15], a[136:137], a[24:25], 0// 000000005C48: D3F3000C 1A023188
	v_mfma_f32_16x16x32_fp8_fp8 v[12:15], a[138:139], a[26:27], v[12:15]// 000000005C50: D3F3000C 1C32358A
	buffer_load_dwordx4 a[84:87], v48, s[84:87], 0 offen offset:1024// 000000005C58: E05C1400 80955430
	v_mfma_f32_16x16x32_fp8_fp8 v[12:15], a[140:141], a[28:29], v[12:15]// 000000005C60: D3F3000C 1C32398C
	v_mfma_f32_16x16x32_fp8_fp8 v[12:15], a[142:143], a[30:31], v[12:15]// 000000005C68: D3F3000C 1C323D8E
	v_fma_f32 v152, v8, v4, v152                               // 000000005C70: D1CB0098 06620908
	v_fma_f32 v153, v9, v4, v153                               // 000000005C78: D1CB0099 06660909
	v_fma_f32 v154, v10, v4, v154                              // 000000005C80: D1CB009A 066A090A
	v_fma_f32 v155, v11, v4, v155                              // 000000005C88: D1CB009B 066E090B
	v_mul_f32_dpp v6, v27, v33 row_newbcast:3 row_mask:0xf bank_mask:0xf// 000000005C90: 0A0C42FA FF01531B
	v_mfma_f32_16x16x32_fp8_fp8 v[8:11], a[144:145], a[24:25], 0// 000000005C98: D3F30008 1A023190
	s_add_u32 s60, 0x180, s80                                  // 000000005CA0: 803C50FF 00000180
	s_cmp_lt_u32 s60, s81                                      // 000000005CA8: BF0A513C
	s_cselect_b32 s57, s57, 0                                  // 000000005CAC: 85398039
	s_cselect_b32 s3, s3, 0                                    // 000000005CB0: 85038003
	v_mfma_f32_16x16x32_fp8_fp8 v[8:11], a[146:147], a[26:27], v[8:11]// 000000005CB4: D3F30008 1C223592
	buffer_load_dwordx4 a[88:91], v49, s[84:87], 0 offen       // 000000005CBC: E05C1000 80955831
	s_add_u32 s60, 0x100, s80                                  // 000000005CC4: 803C50FF 00000100
	s_cmp_lt_u32 s60, s81                                      // 000000005CCC: BF0A513C
	s_cselect_b32 s58, s58, 0                                  // 000000005CD0: 853A803A
	v_mfma_f32_16x16x32_fp8_fp8 v[8:11], a[148:149], a[28:29], v[8:11]// 000000005CD4: D3F30008 1C223994
	s_add_u32 s60, 0x100, s80                                  // 000000005CDC: 803C50FF 00000100
	s_cmp_lt_u32 s60, s81                                      // 000000005CE4: BF0A513C
	s_cselect_b32 s83, s83, 0                                  // 000000005CE8: 85538053
	s_cselect_b32 s4, s4, 0                                    // 000000005CEC: 85048004
	v_mfma_f32_16x16x32_fp8_fp8 v[8:11], a[150:151], a[30:31], v[8:11]// 000000005CF0: D3F30008 1C223D96
	s_add_u32 s24, s58, s24                                    // 000000005CF8: 8018183A
	s_addc_u32 s25, 0, s25                                     // 000000005CFC: 82191980
	v_fma_f32 v160, v12, v4, v160                              // 000000005D00: D1CB00A0 0682090C
	v_fma_f32 v161, v13, v4, v161                              // 000000005D08: D1CB00A1 0686090D
	v_fma_f32 v162, v14, v4, v162                              // 000000005D10: D1CB00A2 068A090E
	v_fma_f32 v163, v15, v4, v163                              // 000000005D18: D1CB00A3 068E090F
	v_mfma_f32_16x16x32_fp8_fp8 v[12:15], a[152:153], a[24:25], 0// 000000005D20: D3F3000C 1A023198
	s_add_u32 s20, s57, s20                                    // 000000005D28: 80141439
	s_addc_u32 s21, 0, s21                                     // 000000005D2C: 82151580
	s_add_u32 s28, s3, s28                                     // 000000005D30: 801C1C03
	s_addc_u32 s29, 0, s29                                     // 000000005D34: 821D1D80
	v_mfma_f32_16x16x32_fp8_fp8 v[12:15], a[154:155], a[26:27], v[12:15]// 000000005D38: D3F3000C 1C32359A
	buffer_load_dwordx4 a[92:95], v49, s[84:87], 0 offen offset:1024// 000000005D40: E05C1400 80955C31
	s_add_u32 s84, s83, s84                                    // 000000005D48: 80545453
	s_addc_u32 s85, 0, s85                                     // 000000005D4C: 82555580
	v_mfma_f32_16x16x32_fp8_fp8 v[12:15], a[156:157], a[28:29], v[12:15]// 000000005D50: D3F3000C 1C32399C
	s_add_u32 s32, s4, s32                                     // 000000005D58: 80202004
	s_addc_u32 s33, 0, s33                                     // 000000005D5C: 82212180
	v_mfma_f32_16x16x32_fp8_fp8 v[12:15], a[158:159], a[30:31], v[12:15]// 000000005D60: D3F3000C 1C323D9E
	v_fma_f32 v168, v8, v6, v168                               // 000000005D68: D1CB00A8 06A20D08
	v_fma_f32 v169, v9, v6, v169                               // 000000005D70: D1CB00A9 06A60D09
	v_fma_f32 v170, v10, v6, v170                              // 000000005D78: D1CB00AA 06AA0D0A
	v_fma_f32 v171, v11, v6, v171                              // 000000005D80: D1CB00AB 06AE0D0B
	v_fma_f32 v176, v12, v6, v176                              // 000000005D88: D1CB00B0 06C20D0C
	v_fma_f32 v177, v13, v6, v177                              // 000000005D90: D1CB00B1 06C60D0D
	v_fma_f32 v178, v14, v6, v178                              // 000000005D98: D1CB00B2 06CA0D0E
	v_fma_f32 v179, v15, v6, v179                              // 000000005DA0: D1CB00B3 06CE0D0F
	s_addk_i32 s80, 0x80                                       // 000000005DA8: B7500080
	s_cmp_lt_i32 s80, s81                                      // 000000005DAC: BF045150
	s_cbranch_scc0 label_1228                                  // 000000005DB0: BF84053B
	s_waitcnt vmcnt(23) lgkmcnt(0)                             // 000000005DB4: BF8C4077
	v_mul_f32_dpp v4, v25, v34 row_newbcast:0 row_mask:0xf bank_mask:0xf// 000000005DB8: 0A0844FA FF015019
	v_mfma_f32_16x16x32_fp8_fp8 v[8:11], a[160:161], a[0:1], 0 // 000000005DC0: D3F30008 1A0201A0
	buffer_load_dword v26, v22, s[32:35], 0 offen              // 000000005DC8: E0501000 80081A16
	v_mfma_f32_16x16x32_fp8_fp8 v[8:11], a[162:163], a[2:3], v[8:11]// 000000005DD0: D3F30008 1C2205A2
	buffer_load_dwordx4 a[96:99], v42, s[24:27], 0 offen       // 000000005DD8: E05C1000 8086602A
	v_mfma_f32_16x16x32_fp8_fp8 v[8:11], a[164:165], a[4:5], v[8:11]// 000000005DE0: D3F30008 1C2209A4
	v_mfma_f32_16x16x32_fp8_fp8 v[8:11], a[166:167], a[6:7], v[8:11]// 000000005DE8: D3F30008 1C220DA6
	v_mfma_f32_16x16x32_fp8_fp8 v[12:15], a[168:169], a[0:1], 0// 000000005DF0: D3F3000C 1A0201A8
	v_mfma_f32_16x16x32_fp8_fp8 v[12:15], a[170:171], a[2:3], v[12:15]// 000000005DF8: D3F3000C 1C3205AA
	buffer_load_dwordx4 a[100:103], v42, s[24:27], 0 offen offset:1024// 000000005E00: E05C1400 8086642A
	v_mfma_f32_16x16x32_fp8_fp8 v[12:15], a[172:173], a[4:5], v[12:15]// 000000005E08: D3F3000C 1C3209AC
	v_mfma_f32_16x16x32_fp8_fp8 v[12:15], a[174:175], a[6:7], v[12:15]// 000000005E10: D3F3000C 1C320DAE
	v_fma_f32 v52, v8, v4, v52                                 // 000000005E18: D1CB0034 04D20908
	v_fma_f32 v53, v9, v4, v53                                 // 000000005E20: D1CB0035 04D60909
	v_fma_f32 v54, v10, v4, v54                                // 000000005E28: D1CB0036 04DA090A
	v_fma_f32 v55, v11, v4, v55                                // 000000005E30: D1CB0037 04DE090B
	v_mul_f32_dpp v6, v25, v34 row_newbcast:1 row_mask:0xf bank_mask:0xf// 000000005E38: 0A0C44FA FF015119
	v_mfma_f32_16x16x32_fp8_fp8 v[8:11], a[176:177], a[0:1], 0 // 000000005E40: D3F30008 1A0201B0
	v_mfma_f32_16x16x32_fp8_fp8 v[8:11], a[178:179], a[2:3], v[8:11]// 000000005E48: D3F30008 1C2205B2
	buffer_load_dwordx4 a[104:107], v43, s[24:27], 0 offen     // 000000005E50: E05C1000 8086682B
	v_mfma_f32_16x16x32_fp8_fp8 v[8:11], a[180:181], a[4:5], v[8:11]// 000000005E58: D3F30008 1C2209B4
	v_mfma_f32_16x16x32_fp8_fp8 v[8:11], a[182:183], a[6:7], v[8:11]// 000000005E60: D3F30008 1C220DB6
	v_fma_f32 v60, v12, v4, v60                                // 000000005E68: D1CB003C 04F2090C
	v_fma_f32 v61, v13, v4, v61                                // 000000005E70: D1CB003D 04F6090D
	v_fma_f32 v62, v14, v4, v62                                // 000000005E78: D1CB003E 04FA090E
	v_fma_f32 v63, v15, v4, v63                                // 000000005E80: D1CB003F 04FE090F
	v_mfma_f32_16x16x32_fp8_fp8 v[12:15], a[184:185], a[0:1], 0// 000000005E88: D3F3000C 1A0201B8
	v_mfma_f32_16x16x32_fp8_fp8 v[12:15], a[186:187], a[2:3], v[12:15]// 000000005E90: D3F3000C 1C3205BA
	buffer_load_dwordx4 a[108:111], v43, s[24:27], 0 offen offset:1024// 000000005E98: E05C1400 80866C2B
	v_mfma_f32_16x16x32_fp8_fp8 v[12:15], a[188:189], a[4:5], v[12:15]// 000000005EA0: D3F3000C 1C3209BC
	v_mfma_f32_16x16x32_fp8_fp8 v[12:15], a[190:191], a[6:7], v[12:15]// 000000005EA8: D3F3000C 1C320DBE
	v_fma_f32 v68, v8, v6, v68                                 // 000000005EB0: D1CB0044 05120D08
	v_fma_f32 v69, v9, v6, v69                                 // 000000005EB8: D1CB0045 05160D09
	v_fma_f32 v70, v10, v6, v70                                // 000000005EC0: D1CB0046 051A0D0A
	v_fma_f32 v71, v11, v6, v71                                // 000000005EC8: D1CB0047 051E0D0B
	v_mul_f32_dpp v4, v25, v34 row_newbcast:2 row_mask:0xf bank_mask:0xf// 000000005ED0: 0A0844FA FF015219
	v_mfma_f32_16x16x32_fp8_fp8 v[8:11], a[192:193], a[0:1], 0 // 000000005ED8: D3F30008 1A0201C0
	v_mfma_f32_16x16x32_fp8_fp8 v[8:11], a[194:195], a[2:3], v[8:11]// 000000005EE0: D3F30008 1C2205C2
	buffer_load_dwordx4 a[112:115], v44, s[24:27], 0 offen     // 000000005EE8: E05C1000 8086702C
	v_mfma_f32_16x16x32_fp8_fp8 v[8:11], a[196:197], a[4:5], v[8:11]// 000000005EF0: D3F30008 1C2209C4
	v_mfma_f32_16x16x32_fp8_fp8 v[8:11], a[198:199], a[6:7], v[8:11]// 000000005EF8: D3F30008 1C220DC6
	v_fma_f32 v76, v12, v6, v76                                // 000000005F00: D1CB004C 05320D0C
	v_fma_f32 v77, v13, v6, v77                                // 000000005F08: D1CB004D 05360D0D
	v_fma_f32 v78, v14, v6, v78                                // 000000005F10: D1CB004E 053A0D0E
	v_fma_f32 v79, v15, v6, v79                                // 000000005F18: D1CB004F 053E0D0F
	v_mfma_f32_16x16x32_fp8_fp8 v[12:15], a[200:201], a[0:1], 0// 000000005F20: D3F3000C 1A0201C8
	v_mfma_f32_16x16x32_fp8_fp8 v[12:15], a[202:203], a[2:3], v[12:15]// 000000005F28: D3F3000C 1C3205CA
	buffer_load_dwordx4 a[116:119], v44, s[24:27], 0 offen offset:1024// 000000005F30: E05C1400 8086742C
	v_mfma_f32_16x16x32_fp8_fp8 v[12:15], a[204:205], a[4:5], v[12:15]// 000000005F38: D3F3000C 1C3209CC
	v_mfma_f32_16x16x32_fp8_fp8 v[12:15], a[206:207], a[6:7], v[12:15]// 000000005F40: D3F3000C 1C320DCE
	v_fma_f32 v84, v8, v4, v84                                 // 000000005F48: D1CB0054 05520908
	v_fma_f32 v85, v9, v4, v85                                 // 000000005F50: D1CB0055 05560909
	v_fma_f32 v86, v10, v4, v86                                // 000000005F58: D1CB0056 055A090A
	v_fma_f32 v87, v11, v4, v87                                // 000000005F60: D1CB0057 055E090B
	v_mul_f32_dpp v6, v25, v34 row_newbcast:3 row_mask:0xf bank_mask:0xf// 000000005F68: 0A0C44FA FF015319
	v_mfma_f32_16x16x32_fp8_fp8 v[8:11], a[208:209], a[0:1], 0 // 000000005F70: D3F30008 1A0201D0
	v_mfma_f32_16x16x32_fp8_fp8 v[8:11], a[210:211], a[2:3], v[8:11]// 000000005F78: D3F30008 1C2205D2
	buffer_load_dwordx4 a[120:123], v45, s[24:27], 0 offen     // 000000005F80: E05C1000 8086782D
	v_mfma_f32_16x16x32_fp8_fp8 v[8:11], a[212:213], a[4:5], v[8:11]// 000000005F88: D3F30008 1C2209D4
	v_mfma_f32_16x16x32_fp8_fp8 v[8:11], a[214:215], a[6:7], v[8:11]// 000000005F90: D3F30008 1C220DD6
	v_fma_f32 v92, v12, v4, v92                                // 000000005F98: D1CB005C 0572090C
	v_fma_f32 v93, v13, v4, v93                                // 000000005FA0: D1CB005D 0576090D
	v_fma_f32 v94, v14, v4, v94                                // 000000005FA8: D1CB005E 057A090E
	v_fma_f32 v95, v15, v4, v95                                // 000000005FB0: D1CB005F 057E090F
	v_mfma_f32_16x16x32_fp8_fp8 v[12:15], a[216:217], a[0:1], 0// 000000005FB8: D3F3000C 1A0201D8
	v_mfma_f32_16x16x32_fp8_fp8 v[12:15], a[218:219], a[2:3], v[12:15]// 000000005FC0: D3F3000C 1C3205DA
	buffer_load_dwordx4 a[124:127], v45, s[24:27], 0 offen offset:1024// 000000005FC8: E05C1400 80867C2D
	v_mfma_f32_16x16x32_fp8_fp8 v[12:15], a[220:221], a[4:5], v[12:15]// 000000005FD0: D3F3000C 1C3209DC
	v_mfma_f32_16x16x32_fp8_fp8 v[12:15], a[222:223], a[6:7], v[12:15]// 000000005FD8: D3F3000C 1C320DDE
	v_fma_f32 v100, v8, v6, v100                               // 000000005FE0: D1CB0064 05920D08
	v_fma_f32 v101, v9, v6, v101                               // 000000005FE8: D1CB0065 05960D09
	v_fma_f32 v102, v10, v6, v102                              // 000000005FF0: D1CB0066 059A0D0A
	v_fma_f32 v103, v11, v6, v103                              // 000000005FF8: D1CB0067 059E0D0B
	v_mul_f32_dpp v4, v25, v35 row_newbcast:0 row_mask:0xf bank_mask:0xf// 000000006000: 0A0846FA FF015019
	v_mfma_f32_16x16x32_fp8_fp8 v[8:11], a[160:161], a[8:9], 0 // 000000006008: D3F30008 1A0211A0
	v_mfma_f32_16x16x32_fp8_fp8 v[8:11], a[162:163], a[10:11], v[8:11]// 000000006010: D3F30008 1C2215A2
	buffer_load_dwordx4 a[128:131], v46, s[24:27], 0 offen     // 000000006018: E05C1000 8086802E
	v_mfma_f32_16x16x32_fp8_fp8 v[8:11], a[164:165], a[12:13], v[8:11]// 000000006020: D3F30008 1C2219A4
	v_mfma_f32_16x16x32_fp8_fp8 v[8:11], a[166:167], a[14:15], v[8:11]// 000000006028: D3F30008 1C221DA6
	v_fma_f32 v108, v12, v6, v108                              // 000000006030: D1CB006C 05B20D0C
	v_fma_f32 v109, v13, v6, v109                              // 000000006038: D1CB006D 05B60D0D
	v_fma_f32 v110, v14, v6, v110                              // 000000006040: D1CB006E 05BA0D0E
	v_fma_f32 v111, v15, v6, v111                              // 000000006048: D1CB006F 05BE0D0F
	v_mfma_f32_16x16x32_fp8_fp8 v[12:15], a[168:169], a[8:9], 0// 000000006050: D3F3000C 1A0211A8
	v_mfma_f32_16x16x32_fp8_fp8 v[12:15], a[170:171], a[10:11], v[12:15]// 000000006058: D3F3000C 1C3215AA
	buffer_load_dwordx4 a[132:135], v46, s[24:27], 0 offen offset:1024// 000000006060: E05C1400 8086842E
	v_mfma_f32_16x16x32_fp8_fp8 v[12:15], a[172:173], a[12:13], v[12:15]// 000000006068: D3F3000C 1C3219AC
	v_mfma_f32_16x16x32_fp8_fp8 v[12:15], a[174:175], a[14:15], v[12:15]// 000000006070: D3F3000C 1C321DAE
	v_fma_f32 v56, v8, v4, v56                                 // 000000006078: D1CB0038 04E20908
	v_fma_f32 v57, v9, v4, v57                                 // 000000006080: D1CB0039 04E60909
	v_fma_f32 v58, v10, v4, v58                                // 000000006088: D1CB003A 04EA090A
	v_fma_f32 v59, v11, v4, v59                                // 000000006090: D1CB003B 04EE090B
	v_mul_f32_dpp v6, v25, v35 row_newbcast:1 row_mask:0xf bank_mask:0xf// 000000006098: 0A0C46FA FF015119
	v_mfma_f32_16x16x32_fp8_fp8 v[8:11], a[176:177], a[8:9], 0 // 0000000060A0: D3F30008 1A0211B0
	v_mfma_f32_16x16x32_fp8_fp8 v[8:11], a[178:179], a[10:11], v[8:11]// 0000000060A8: D3F30008 1C2215B2
	buffer_load_dwordx4 a[136:139], v47, s[24:27], 0 offen     // 0000000060B0: E05C1000 8086882F
	v_mfma_f32_16x16x32_fp8_fp8 v[8:11], a[180:181], a[12:13], v[8:11]// 0000000060B8: D3F30008 1C2219B4
	v_mfma_f32_16x16x32_fp8_fp8 v[8:11], a[182:183], a[14:15], v[8:11]// 0000000060C0: D3F30008 1C221DB6
	v_fma_f32 v64, v12, v4, v64                                // 0000000060C8: D1CB0040 0502090C
	v_fma_f32 v65, v13, v4, v65                                // 0000000060D0: D1CB0041 0506090D
	v_fma_f32 v66, v14, v4, v66                                // 0000000060D8: D1CB0042 050A090E
	v_fma_f32 v67, v15, v4, v67                                // 0000000060E0: D1CB0043 050E090F
	v_mfma_f32_16x16x32_fp8_fp8 v[12:15], a[184:185], a[8:9], 0// 0000000060E8: D3F3000C 1A0211B8
	v_mfma_f32_16x16x32_fp8_fp8 v[12:15], a[186:187], a[10:11], v[12:15]// 0000000060F0: D3F3000C 1C3215BA
	buffer_load_dwordx4 a[140:143], v47, s[24:27], 0 offen offset:1024// 0000000060F8: E05C1400 80868C2F
	v_mfma_f32_16x16x32_fp8_fp8 v[12:15], a[188:189], a[12:13], v[12:15]// 000000006100: D3F3000C 1C3219BC
	v_mfma_f32_16x16x32_fp8_fp8 v[12:15], a[190:191], a[14:15], v[12:15]// 000000006108: D3F3000C 1C321DBE
	v_fma_f32 v72, v8, v6, v72                                 // 000000006110: D1CB0048 05220D08
	v_fma_f32 v73, v9, v6, v73                                 // 000000006118: D1CB0049 05260D09
	v_fma_f32 v74, v10, v6, v74                                // 000000006120: D1CB004A 052A0D0A
	v_fma_f32 v75, v11, v6, v75                                // 000000006128: D1CB004B 052E0D0B
	v_mul_f32_dpp v4, v25, v35 row_newbcast:2 row_mask:0xf bank_mask:0xf// 000000006130: 0A0846FA FF015219
	v_mfma_f32_16x16x32_fp8_fp8 v[8:11], a[192:193], a[8:9], 0 // 000000006138: D3F30008 1A0211C0
	v_mfma_f32_16x16x32_fp8_fp8 v[8:11], a[194:195], a[10:11], v[8:11]// 000000006140: D3F30008 1C2215C2
	buffer_load_dwordx4 a[144:147], v48, s[24:27], 0 offen     // 000000006148: E05C1000 80869030
	v_mfma_f32_16x16x32_fp8_fp8 v[8:11], a[196:197], a[12:13], v[8:11]// 000000006150: D3F30008 1C2219C4
	v_mfma_f32_16x16x32_fp8_fp8 v[8:11], a[198:199], a[14:15], v[8:11]// 000000006158: D3F30008 1C221DC6
	v_fma_f32 v80, v12, v6, v80                                // 000000006160: D1CB0050 05420D0C
	v_fma_f32 v81, v13, v6, v81                                // 000000006168: D1CB0051 05460D0D
	v_fma_f32 v82, v14, v6, v82                                // 000000006170: D1CB0052 054A0D0E
	v_fma_f32 v83, v15, v6, v83                                // 000000006178: D1CB0053 054E0D0F
	v_mfma_f32_16x16x32_fp8_fp8 v[12:15], a[200:201], a[8:9], 0// 000000006180: D3F3000C 1A0211C8
	v_mfma_f32_16x16x32_fp8_fp8 v[12:15], a[202:203], a[10:11], v[12:15]// 000000006188: D3F3000C 1C3215CA
	buffer_load_dwordx4 a[148:151], v48, s[24:27], 0 offen offset:1024// 000000006190: E05C1400 80869430
	v_mfma_f32_16x16x32_fp8_fp8 v[12:15], a[204:205], a[12:13], v[12:15]// 000000006198: D3F3000C 1C3219CC
	v_mfma_f32_16x16x32_fp8_fp8 v[12:15], a[206:207], a[14:15], v[12:15]// 0000000061A0: D3F3000C 1C321DCE
	v_fma_f32 v88, v8, v4, v88                                 // 0000000061A8: D1CB0058 05620908
	v_fma_f32 v89, v9, v4, v89                                 // 0000000061B0: D1CB0059 05660909
	v_fma_f32 v90, v10, v4, v90                                // 0000000061B8: D1CB005A 056A090A
	v_fma_f32 v91, v11, v4, v91                                // 0000000061C0: D1CB005B 056E090B
	v_mul_f32_dpp v6, v25, v35 row_newbcast:3 row_mask:0xf bank_mask:0xf// 0000000061C8: 0A0C46FA FF015319
	v_mfma_f32_16x16x32_fp8_fp8 v[8:11], a[208:209], a[8:9], 0 // 0000000061D0: D3F30008 1A0211D0
	v_mfma_f32_16x16x32_fp8_fp8 v[8:11], a[210:211], a[10:11], v[8:11]// 0000000061D8: D3F30008 1C2215D2
	buffer_load_dwordx4 a[152:155], v49, s[24:27], 0 offen     // 0000000061E0: E05C1000 80869831
	v_mfma_f32_16x16x32_fp8_fp8 v[8:11], a[212:213], a[12:13], v[8:11]// 0000000061E8: D3F30008 1C2219D4
	v_mfma_f32_16x16x32_fp8_fp8 v[8:11], a[214:215], a[14:15], v[8:11]// 0000000061F0: D3F30008 1C221DD6
	v_fma_f32 v96, v12, v4, v96                                // 0000000061F8: D1CB0060 0582090C
	v_fma_f32 v97, v13, v4, v97                                // 000000006200: D1CB0061 0586090D
	v_fma_f32 v98, v14, v4, v98                                // 000000006208: D1CB0062 058A090E
	v_fma_f32 v99, v15, v4, v99                                // 000000006210: D1CB0063 058E090F
	v_mfma_f32_16x16x32_fp8_fp8 v[12:15], a[216:217], a[8:9], 0// 000000006218: D3F3000C 1A0211D8
	v_mfma_f32_16x16x32_fp8_fp8 v[12:15], a[218:219], a[10:11], v[12:15]// 000000006220: D3F3000C 1C3215DA
	buffer_load_dwordx4 a[156:159], v49, s[24:27], 0 offen offset:1024// 000000006228: E05C1400 80869C31
	buffer_load_dword v38, s[20:23], 0 offen lds               // 000000006230: E0511000 80050026
	s_add_u32 m0, 0x100, s48                                   // 000000006238: 807C30FF 00000100
	v_mfma_f32_16x16x32_fp8_fp8 v[12:15], a[220:221], a[12:13], v[12:15]// 000000006240: D3F3000C 1C3219DC
	v_mfma_f32_16x16x32_fp8_fp8 v[12:15], a[222:223], a[14:15], v[12:15]// 000000006248: D3F3000C 1C321DDE
	buffer_load_dword v39, s[20:23], 0 offen lds               // 000000006250: E0511000 80050027
	s_add_u32 m0, 0x200, s48                                   // 000000006258: 807C30FF 00000200
	v_fma_f32 v104, v8, v6, v104                               // 000000006260: D1CB0068 05A20D08
	v_fma_f32 v105, v9, v6, v105                               // 000000006268: D1CB0069 05A60D09
	v_fma_f32 v106, v10, v6, v106                              // 000000006270: D1CB006A 05AA0D0A
	v_fma_f32 v107, v11, v6, v107                              // 000000006278: D1CB006B 05AE0D0B
	v_fma_f32 v112, v12, v6, v112                              // 000000006280: D1CB0070 05C20D0C
	v_fma_f32 v113, v13, v6, v113                              // 000000006288: D1CB0071 05C60D0D
	v_fma_f32 v114, v14, v6, v114                              // 000000006290: D1CB0072 05CA0D0E
	v_fma_f32 v115, v15, v6, v115                              // 000000006298: D1CB0073 05CE0D0F
	buffer_load_dword v40, s[20:23], 0 offen lds               // 0000000062A0: E0511000 80050028
	s_add_u32 m0, 0x300, s48                                   // 0000000062A8: 807C30FF 00000300
	buffer_load_dword v41, s[20:23], 0 offen lds               // 0000000062B0: E0511000 80050029
	s_add_u32 m0, 0, s49                                       // 0000000062B8: 807C3180
	buffer_load_dword v32, v30, s[28:31], 0 offen              // 0000000062BC: E0501000 8007201E
	buffer_load_dword v33, v31, s[28:31], 0 offen              // 0000000062C4: E0501000 8007211F
	s_waitcnt vmcnt(23)                                        // 0000000062CC: BF8C4F77
	s_barrier                                                  // 0000000062D0: BF8A0000
	v_mul_f32_dpp v4, v28, v34 row_newbcast:0 row_mask:0xf bank_mask:0xf// 0000000062D4: 0A0844FA FF01501C
	v_mfma_f32_16x16x32_fp8_fp8 v[8:11], a[32:33], a[0:1], 0   // 0000000062DC: D3F30008 1A020120
	buffer_load_dword v29, v23, s[32:35], 0 offen              // 0000000062E4: E0501000 80081D17
	v_mfma_f32_16x16x32_fp8_fp8 v[8:11], a[34:35], a[2:3], v[8:11]// 0000000062EC: D3F30008 1C220522
	buffer_load_dwordx4 a[160:163], v42, s[84:87], 0 offen     // 0000000062F4: E05C1000 8095A02A
	v_mfma_f32_16x16x32_fp8_fp8 v[8:11], a[36:37], a[4:5], v[8:11]// 0000000062FC: D3F30008 1C220924
	v_mfma_f32_16x16x32_fp8_fp8 v[8:11], a[38:39], a[6:7], v[8:11]// 000000006304: D3F30008 1C220D26
	ds_read_b128 a[16:19], v2 offset:8448                      // 00000000630C: DBFE2100 10000002
	ds_read_b128 a[20:23], v2 offset:8512                      // 000000006314: DBFE2140 14000002
	v_mfma_f32_16x16x32_fp8_fp8 v[12:15], a[40:41], a[0:1], 0  // 00000000631C: D3F3000C 1A020128
	v_mfma_f32_16x16x32_fp8_fp8 v[12:15], a[42:43], a[2:3], v[12:15]// 000000006324: D3F3000C 1C32052A
	buffer_load_dwordx4 a[164:167], v42, s[84:87], 0 offen offset:1024// 00000000632C: E05C1400 8095A42A
	v_mfma_f32_16x16x32_fp8_fp8 v[12:15], a[44:45], a[4:5], v[12:15]// 000000006334: D3F3000C 1C32092C
	v_mfma_f32_16x16x32_fp8_fp8 v[12:15], a[46:47], a[6:7], v[12:15]// 00000000633C: D3F3000C 1C320D2E
	ds_read_b128 a[24:27], v2 offset:8960                      // 000000006344: DBFE2300 18000002
	ds_read_b128 a[28:31], v2 offset:9024                      // 00000000634C: DBFE2340 1C000002
	v_fma_f32 v116, v8, v4, v116                               // 000000006354: D1CB0074 05D20908
	v_fma_f32 v117, v9, v4, v117                               // 00000000635C: D1CB0075 05D60909
	v_fma_f32 v118, v10, v4, v118                              // 000000006364: D1CB0076 05DA090A
	v_fma_f32 v119, v11, v4, v119                              // 00000000636C: D1CB0077 05DE090B
	v_mul_f32_dpp v6, v28, v34 row_newbcast:1 row_mask:0xf bank_mask:0xf// 000000006374: 0A0C44FA FF01511C
	v_mfma_f32_16x16x32_fp8_fp8 v[8:11], a[48:49], a[0:1], 0   // 00000000637C: D3F30008 1A020130
	v_mfma_f32_16x16x32_fp8_fp8 v[8:11], a[50:51], a[2:3], v[8:11]// 000000006384: D3F30008 1C220532
	buffer_load_dwordx4 a[168:171], v43, s[84:87], 0 offen     // 00000000638C: E05C1000 8095A82B
	v_mfma_f32_16x16x32_fp8_fp8 v[8:11], a[52:53], a[4:5], v[8:11]// 000000006394: D3F30008 1C220934
	v_mfma_f32_16x16x32_fp8_fp8 v[8:11], a[54:55], a[6:7], v[8:11]// 00000000639C: D3F30008 1C220D36
	v_fma_f32 v124, v12, v4, v124                              // 0000000063A4: D1CB007C 05F2090C
	v_fma_f32 v125, v13, v4, v125                              // 0000000063AC: D1CB007D 05F6090D
	v_fma_f32 v126, v14, v4, v126                              // 0000000063B4: D1CB007E 05FA090E
	v_fma_f32 v127, v15, v4, v127                              // 0000000063BC: D1CB007F 05FE090F
	v_mfma_f32_16x16x32_fp8_fp8 v[12:15], a[56:57], a[0:1], 0  // 0000000063C4: D3F3000C 1A020138
	v_mfma_f32_16x16x32_fp8_fp8 v[12:15], a[58:59], a[2:3], v[12:15]// 0000000063CC: D3F3000C 1C32053A
	buffer_load_dwordx4 a[172:175], v43, s[84:87], 0 offen offset:1024// 0000000063D4: E05C1400 8095AC2B
	v_mfma_f32_16x16x32_fp8_fp8 v[12:15], a[60:61], a[4:5], v[12:15]// 0000000063DC: D3F3000C 1C32093C
	v_mfma_f32_16x16x32_fp8_fp8 v[12:15], a[62:63], a[6:7], v[12:15]// 0000000063E4: D3F3000C 1C320D3E
	v_fma_f32 v132, v8, v6, v132                               // 0000000063EC: D1CB0084 06120D08
	v_fma_f32 v133, v9, v6, v133                               // 0000000063F4: D1CB0085 06160D09
	v_fma_f32 v134, v10, v6, v134                              // 0000000063FC: D1CB0086 061A0D0A
	v_fma_f32 v135, v11, v6, v135                              // 000000006404: D1CB0087 061E0D0B
	v_mul_f32_dpp v4, v28, v34 row_newbcast:2 row_mask:0xf bank_mask:0xf// 00000000640C: 0A0844FA FF01521C
	v_mfma_f32_16x16x32_fp8_fp8 v[8:11], a[64:65], a[0:1], 0   // 000000006414: D3F30008 1A020140
	v_mfma_f32_16x16x32_fp8_fp8 v[8:11], a[66:67], a[2:3], v[8:11]// 00000000641C: D3F30008 1C220542
	buffer_load_dwordx4 a[176:179], v44, s[84:87], 0 offen     // 000000006424: E05C1000 8095B02C
	v_mfma_f32_16x16x32_fp8_fp8 v[8:11], a[68:69], a[4:5], v[8:11]// 00000000642C: D3F30008 1C220944
	v_mfma_f32_16x16x32_fp8_fp8 v[8:11], a[70:71], a[6:7], v[8:11]// 000000006434: D3F30008 1C220D46
	v_fma_f32 v140, v12, v6, v140                              // 00000000643C: D1CB008C 06320D0C
	v_fma_f32 v141, v13, v6, v141                              // 000000006444: D1CB008D 06360D0D
	v_fma_f32 v142, v14, v6, v142                              // 00000000644C: D1CB008E 063A0D0E
	v_fma_f32 v143, v15, v6, v143                              // 000000006454: D1CB008F 063E0D0F
	v_mfma_f32_16x16x32_fp8_fp8 v[12:15], a[72:73], a[0:1], 0  // 00000000645C: D3F3000C 1A020148
	v_mfma_f32_16x16x32_fp8_fp8 v[12:15], a[74:75], a[2:3], v[12:15]// 000000006464: D3F3000C 1C32054A
	buffer_load_dwordx4 a[180:183], v44, s[84:87], 0 offen offset:1024// 00000000646C: E05C1400 8095B42C
	v_mfma_f32_16x16x32_fp8_fp8 v[12:15], a[76:77], a[4:5], v[12:15]// 000000006474: D3F3000C 1C32094C
	v_mfma_f32_16x16x32_fp8_fp8 v[12:15], a[78:79], a[6:7], v[12:15]// 00000000647C: D3F3000C 1C320D4E
	v_fma_f32 v148, v8, v4, v148                               // 000000006484: D1CB0094 06520908
	v_fma_f32 v149, v9, v4, v149                               // 00000000648C: D1CB0095 06560909
	v_fma_f32 v150, v10, v4, v150                              // 000000006494: D1CB0096 065A090A
	v_fma_f32 v151, v11, v4, v151                              // 00000000649C: D1CB0097 065E090B
	v_mul_f32_dpp v6, v28, v34 row_newbcast:3 row_mask:0xf bank_mask:0xf// 0000000064A4: 0A0C44FA FF01531C
	v_mfma_f32_16x16x32_fp8_fp8 v[8:11], a[80:81], a[0:1], 0   // 0000000064AC: D3F30008 1A020150
	v_mfma_f32_16x16x32_fp8_fp8 v[8:11], a[82:83], a[2:3], v[8:11]// 0000000064B4: D3F30008 1C220552
	buffer_load_dwordx4 a[184:187], v45, s[84:87], 0 offen     // 0000000064BC: E05C1000 8095B82D
	v_mfma_f32_16x16x32_fp8_fp8 v[8:11], a[84:85], a[4:5], v[8:11]// 0000000064C4: D3F30008 1C220954
	v_mfma_f32_16x16x32_fp8_fp8 v[8:11], a[86:87], a[6:7], v[8:11]// 0000000064CC: D3F30008 1C220D56
	v_fma_f32 v156, v12, v4, v156                              // 0000000064D4: D1CB009C 0672090C
	v_fma_f32 v157, v13, v4, v157                              // 0000000064DC: D1CB009D 0676090D
	v_fma_f32 v158, v14, v4, v158                              // 0000000064E4: D1CB009E 067A090E
	v_fma_f32 v159, v15, v4, v159                              // 0000000064EC: D1CB009F 067E090F
	v_mfma_f32_16x16x32_fp8_fp8 v[12:15], a[88:89], a[0:1], 0  // 0000000064F4: D3F3000C 1A020158
	v_mfma_f32_16x16x32_fp8_fp8 v[12:15], a[90:91], a[2:3], v[12:15]// 0000000064FC: D3F3000C 1C32055A
	buffer_load_dwordx4 a[188:191], v45, s[84:87], 0 offen offset:1024// 000000006504: E05C1400 8095BC2D
	v_mfma_f32_16x16x32_fp8_fp8 v[12:15], a[92:93], a[4:5], v[12:15]// 00000000650C: D3F3000C 1C32095C
	v_mfma_f32_16x16x32_fp8_fp8 v[12:15], a[94:95], a[6:7], v[12:15]// 000000006514: D3F3000C 1C320D5E
	v_fma_f32 v164, v8, v6, v164                               // 00000000651C: D1CB00A4 06920D08
	v_fma_f32 v165, v9, v6, v165                               // 000000006524: D1CB00A5 06960D09
	v_fma_f32 v166, v10, v6, v166                              // 00000000652C: D1CB00A6 069A0D0A
	v_fma_f32 v167, v11, v6, v167                              // 000000006534: D1CB00A7 069E0D0B
	v_mul_f32_dpp v4, v28, v35 row_newbcast:0 row_mask:0xf bank_mask:0xf// 00000000653C: 0A0846FA FF01501C
	v_mfma_f32_16x16x32_fp8_fp8 v[8:11], a[32:33], a[8:9], 0   // 000000006544: D3F30008 1A021120
	v_mfma_f32_16x16x32_fp8_fp8 v[8:11], a[34:35], a[10:11], v[8:11]// 00000000654C: D3F30008 1C221522
	buffer_load_dwordx4 a[192:195], v46, s[84:87], 0 offen     // 000000006554: E05C1000 8095C02E
	v_mfma_f32_16x16x32_fp8_fp8 v[8:11], a[36:37], a[12:13], v[8:11]// 00000000655C: D3F30008 1C221924
	v_mfma_f32_16x16x32_fp8_fp8 v[8:11], a[38:39], a[14:15], v[8:11]// 000000006564: D3F30008 1C221D26
	v_fma_f32 v172, v12, v6, v172                              // 00000000656C: D1CB00AC 06B20D0C
	v_fma_f32 v173, v13, v6, v173                              // 000000006574: D1CB00AD 06B60D0D
	v_fma_f32 v174, v14, v6, v174                              // 00000000657C: D1CB00AE 06BA0D0E
	v_fma_f32 v175, v15, v6, v175                              // 000000006584: D1CB00AF 06BE0D0F
	v_mfma_f32_16x16x32_fp8_fp8 v[12:15], a[40:41], a[8:9], 0  // 00000000658C: D3F3000C 1A021128
	v_mfma_f32_16x16x32_fp8_fp8 v[12:15], a[42:43], a[10:11], v[12:15]// 000000006594: D3F3000C 1C32152A
	buffer_load_dwordx4 a[196:199], v46, s[84:87], 0 offen offset:1024// 00000000659C: E05C1400 8095C42E
	v_mfma_f32_16x16x32_fp8_fp8 v[12:15], a[44:45], a[12:13], v[12:15]// 0000000065A4: D3F3000C 1C32192C
	v_mfma_f32_16x16x32_fp8_fp8 v[12:15], a[46:47], a[14:15], v[12:15]// 0000000065AC: D3F3000C 1C321D2E
	v_fma_f32 v120, v8, v4, v120                               // 0000000065B4: D1CB0078 05E20908
	v_fma_f32 v121, v9, v4, v121                               // 0000000065BC: D1CB0079 05E60909
	v_fma_f32 v122, v10, v4, v122                              // 0000000065C4: D1CB007A 05EA090A
	v_fma_f32 v123, v11, v4, v123                              // 0000000065CC: D1CB007B 05EE090B
	v_mul_f32_dpp v6, v28, v35 row_newbcast:1 row_mask:0xf bank_mask:0xf// 0000000065D4: 0A0C46FA FF01511C
	v_mfma_f32_16x16x32_fp8_fp8 v[8:11], a[48:49], a[8:9], 0   // 0000000065DC: D3F30008 1A021130
	v_mfma_f32_16x16x32_fp8_fp8 v[8:11], a[50:51], a[10:11], v[8:11]// 0000000065E4: D3F30008 1C221532
	buffer_load_dwordx4 a[200:203], v47, s[84:87], 0 offen     // 0000000065EC: E05C1000 8095C82F
	v_mfma_f32_16x16x32_fp8_fp8 v[8:11], a[52:53], a[12:13], v[8:11]// 0000000065F4: D3F30008 1C221934
	v_mfma_f32_16x16x32_fp8_fp8 v[8:11], a[54:55], a[14:15], v[8:11]// 0000000065FC: D3F30008 1C221D36
	v_fma_f32 v128, v12, v4, v128                              // 000000006604: D1CB0080 0602090C
	v_fma_f32 v129, v13, v4, v129                              // 00000000660C: D1CB0081 0606090D
	v_fma_f32 v130, v14, v4, v130                              // 000000006614: D1CB0082 060A090E
	v_fma_f32 v131, v15, v4, v131                              // 00000000661C: D1CB0083 060E090F
	v_mfma_f32_16x16x32_fp8_fp8 v[12:15], a[56:57], a[8:9], 0  // 000000006624: D3F3000C 1A021138
	v_mfma_f32_16x16x32_fp8_fp8 v[12:15], a[58:59], a[10:11], v[12:15]// 00000000662C: D3F3000C 1C32153A
	buffer_load_dwordx4 a[204:207], v47, s[84:87], 0 offen offset:1024// 000000006634: E05C1400 8095CC2F
	v_mfma_f32_16x16x32_fp8_fp8 v[12:15], a[60:61], a[12:13], v[12:15]// 00000000663C: D3F3000C 1C32193C
	v_mfma_f32_16x16x32_fp8_fp8 v[12:15], a[62:63], a[14:15], v[12:15]// 000000006644: D3F3000C 1C321D3E
	v_fma_f32 v136, v8, v6, v136                               // 00000000664C: D1CB0088 06220D08
	v_fma_f32 v137, v9, v6, v137                               // 000000006654: D1CB0089 06260D09
	v_fma_f32 v138, v10, v6, v138                              // 00000000665C: D1CB008A 062A0D0A
	v_fma_f32 v139, v11, v6, v139                              // 000000006664: D1CB008B 062E0D0B
	v_mul_f32_dpp v4, v28, v35 row_newbcast:2 row_mask:0xf bank_mask:0xf// 00000000666C: 0A0846FA FF01521C
	v_mfma_f32_16x16x32_fp8_fp8 v[8:11], a[64:65], a[8:9], 0   // 000000006674: D3F30008 1A021140
	v_mfma_f32_16x16x32_fp8_fp8 v[8:11], a[66:67], a[10:11], v[8:11]// 00000000667C: D3F30008 1C221542
	buffer_load_dwordx4 a[208:211], v48, s[84:87], 0 offen     // 000000006684: E05C1000 8095D030
	v_mfma_f32_16x16x32_fp8_fp8 v[8:11], a[68:69], a[12:13], v[8:11]// 00000000668C: D3F30008 1C221944
	v_mfma_f32_16x16x32_fp8_fp8 v[8:11], a[70:71], a[14:15], v[8:11]// 000000006694: D3F30008 1C221D46
	v_fma_f32 v144, v12, v6, v144                              // 00000000669C: D1CB0090 06420D0C
	v_fma_f32 v145, v13, v6, v145                              // 0000000066A4: D1CB0091 06460D0D
	v_fma_f32 v146, v14, v6, v146                              // 0000000066AC: D1CB0092 064A0D0E
	v_fma_f32 v147, v15, v6, v147                              // 0000000066B4: D1CB0093 064E0D0F
	v_mfma_f32_16x16x32_fp8_fp8 v[12:15], a[72:73], a[8:9], 0  // 0000000066BC: D3F3000C 1A021148
	v_mfma_f32_16x16x32_fp8_fp8 v[12:15], a[74:75], a[10:11], v[12:15]// 0000000066C4: D3F3000C 1C32154A
	buffer_load_dwordx4 a[212:215], v48, s[84:87], 0 offen offset:1024// 0000000066CC: E05C1400 8095D430
	v_mfma_f32_16x16x32_fp8_fp8 v[12:15], a[76:77], a[12:13], v[12:15]// 0000000066D4: D3F3000C 1C32194C
	v_mfma_f32_16x16x32_fp8_fp8 v[12:15], a[78:79], a[14:15], v[12:15]// 0000000066DC: D3F3000C 1C321D4E
	v_fma_f32 v152, v8, v4, v152                               // 0000000066E4: D1CB0098 06620908
	v_fma_f32 v153, v9, v4, v153                               // 0000000066EC: D1CB0099 06660909
	v_fma_f32 v154, v10, v4, v154                              // 0000000066F4: D1CB009A 066A090A
	v_fma_f32 v155, v11, v4, v155                              // 0000000066FC: D1CB009B 066E090B
	v_mul_f32_dpp v6, v28, v35 row_newbcast:3 row_mask:0xf bank_mask:0xf// 000000006704: 0A0C46FA FF01531C
	v_mfma_f32_16x16x32_fp8_fp8 v[8:11], a[80:81], a[8:9], 0   // 00000000670C: D3F30008 1A021150
	s_add_u32 s60, 0x180, s80                                  // 000000006714: 803C50FF 00000180
	s_cmp_lt_u32 s60, s81                                      // 00000000671C: BF0A513C
	s_cselect_b32 s57, s57, 0                                  // 000000006720: 85398039
	s_cselect_b32 s3, s3, 0                                    // 000000006724: 85038003
	v_mfma_f32_16x16x32_fp8_fp8 v[8:11], a[82:83], a[10:11], v[8:11]// 000000006728: D3F30008 1C221552
	buffer_load_dwordx4 a[216:219], v49, s[84:87], 0 offen     // 000000006730: E05C1000 8095D831
	s_add_u32 s60, 0x100, s80                                  // 000000006738: 803C50FF 00000100
	s_cmp_lt_u32 s60, s81                                      // 000000006740: BF0A513C
	s_cselect_b32 s58, s58, 0                                  // 000000006744: 853A803A
	v_mfma_f32_16x16x32_fp8_fp8 v[8:11], a[84:85], a[12:13], v[8:11]// 000000006748: D3F30008 1C221954
	s_add_u32 s60, 0x100, s80                                  // 000000006750: 803C50FF 00000100
	s_cmp_lt_u32 s60, s81                                      // 000000006758: BF0A513C
	s_cselect_b32 s83, s83, 0                                  // 00000000675C: 85538053
	s_cselect_b32 s4, s4, 0                                    // 000000006760: 85048004
	v_mfma_f32_16x16x32_fp8_fp8 v[8:11], a[86:87], a[14:15], v[8:11]// 000000006764: D3F30008 1C221D56
	s_add_u32 s24, s58, s24                                    // 00000000676C: 8018183A
	s_addc_u32 s25, 0, s25                                     // 000000006770: 82191980
	v_fma_f32 v160, v12, v4, v160                              // 000000006774: D1CB00A0 0682090C
	v_fma_f32 v161, v13, v4, v161                              // 00000000677C: D1CB00A1 0686090D
	v_fma_f32 v162, v14, v4, v162                              // 000000006784: D1CB00A2 068A090E
	v_fma_f32 v163, v15, v4, v163                              // 00000000678C: D1CB00A3 068E090F
	v_mfma_f32_16x16x32_fp8_fp8 v[12:15], a[88:89], a[8:9], 0  // 000000006794: D3F3000C 1A021158
	s_add_u32 s20, s57, s20                                    // 00000000679C: 80141439
	s_addc_u32 s21, 0, s21                                     // 0000000067A0: 82151580
	s_add_u32 s28, s3, s28                                     // 0000000067A4: 801C1C03
	s_addc_u32 s29, 0, s29                                     // 0000000067A8: 821D1D80
	v_mfma_f32_16x16x32_fp8_fp8 v[12:15], a[90:91], a[10:11], v[12:15]// 0000000067AC: D3F3000C 1C32155A
	buffer_load_dwordx4 a[220:223], v49, s[84:87], 0 offen offset:1024// 0000000067B4: E05C1400 8095DC31
	s_add_u32 s84, s83, s84                                    // 0000000067BC: 80545453
	s_addc_u32 s85, 0, s85                                     // 0000000067C0: 82555580
	v_mfma_f32_16x16x32_fp8_fp8 v[12:15], a[92:93], a[12:13], v[12:15]// 0000000067C4: D3F3000C 1C32195C
	s_add_u32 s32, s4, s32                                     // 0000000067CC: 80202004
	s_addc_u32 s33, 0, s33                                     // 0000000067D0: 82212180
	v_mfma_f32_16x16x32_fp8_fp8 v[12:15], a[94:95], a[14:15], v[12:15]// 0000000067D4: D3F3000C 1C321D5E
	v_fma_f32 v168, v8, v6, v168                               // 0000000067DC: D1CB00A8 06A20D08
	v_fma_f32 v169, v9, v6, v169                               // 0000000067E4: D1CB00A9 06A60D09
	v_fma_f32 v170, v10, v6, v170                              // 0000000067EC: D1CB00AA 06AA0D0A
	v_fma_f32 v171, v11, v6, v171                              // 0000000067F4: D1CB00AB 06AE0D0B
	v_fma_f32 v176, v12, v6, v176                              // 0000000067FC: D1CB00B0 06C20D0C
	v_fma_f32 v177, v13, v6, v177                              // 000000006804: D1CB00B1 06C60D0D
	v_fma_f32 v178, v14, v6, v178                              // 00000000680C: D1CB00B2 06CA0D0E
	v_fma_f32 v179, v15, v6, v179                              // 000000006814: D1CB00B3 06CE0D0F
	s_addk_i32 s80, 0x80                                       // 00000000681C: B7500080
	s_cmp_lt_i32 s80, s81                                      // 000000006820: BF045150
	s_cbranch_scc0 label_1228                                  // 000000006824: BF84029E
	s_waitcnt vmcnt(23) lgkmcnt(0)                             // 000000006828: BF8C4077
	v_mul_f32_dpp v4, v26, v36 row_newbcast:0 row_mask:0xf bank_mask:0xf// 00000000682C: 0A0848FA FF01501A
	v_mfma_f32_16x16x32_fp8_fp8 v[8:11], a[96:97], a[16:17], 0 // 000000006834: D3F30008 1A022160
	buffer_load_dword v24, v22, s[32:35], 0 offen              // 00000000683C: E0501000 80081816
	v_mfma_f32_16x16x32_fp8_fp8 v[8:11], a[98:99], a[18:19], v[8:11]// 000000006844: D3F30008 1C222562
	buffer_load_dwordx4 a[32:35], v42, s[24:27], 0 offen       // 00000000684C: E05C1000 8086202A
	v_mfma_f32_16x16x32_fp8_fp8 v[8:11], a[100:101], a[20:21], v[8:11]// 000000006854: D3F30008 1C222964
	v_mfma_f32_16x16x32_fp8_fp8 v[8:11], a[102:103], a[22:23], v[8:11]// 00000000685C: D3F30008 1C222D66
	v_mfma_f32_16x16x32_fp8_fp8 v[12:15], a[104:105], a[16:17], 0// 000000006864: D3F3000C 1A022168
	v_mfma_f32_16x16x32_fp8_fp8 v[12:15], a[106:107], a[18:19], v[12:15]// 00000000686C: D3F3000C 1C32256A
	buffer_load_dwordx4 a[36:39], v42, s[24:27], 0 offen offset:1024// 000000006874: E05C1400 8086242A
	v_mfma_f32_16x16x32_fp8_fp8 v[12:15], a[108:109], a[20:21], v[12:15]// 00000000687C: D3F3000C 1C32296C
	v_mfma_f32_16x16x32_fp8_fp8 v[12:15], a[110:111], a[22:23], v[12:15]// 000000006884: D3F3000C 1C322D6E
	v_fma_f32 v52, v8, v4, v52                                 // 00000000688C: D1CB0034 04D20908
	v_fma_f32 v53, v9, v4, v53                                 // 000000006894: D1CB0035 04D60909
	v_fma_f32 v54, v10, v4, v54                                // 00000000689C: D1CB0036 04DA090A
	v_fma_f32 v55, v11, v4, v55                                // 0000000068A4: D1CB0037 04DE090B
	v_mul_f32_dpp v6, v26, v36 row_newbcast:1 row_mask:0xf bank_mask:0xf// 0000000068AC: 0A0C48FA FF01511A
	v_mfma_f32_16x16x32_fp8_fp8 v[8:11], a[112:113], a[16:17], 0// 0000000068B4: D3F30008 1A022170
	v_mfma_f32_16x16x32_fp8_fp8 v[8:11], a[114:115], a[18:19], v[8:11]// 0000000068BC: D3F30008 1C222572
	buffer_load_dwordx4 a[40:43], v43, s[24:27], 0 offen       // 0000000068C4: E05C1000 8086282B
	v_mfma_f32_16x16x32_fp8_fp8 v[8:11], a[116:117], a[20:21], v[8:11]// 0000000068CC: D3F30008 1C222974
	v_mfma_f32_16x16x32_fp8_fp8 v[8:11], a[118:119], a[22:23], v[8:11]// 0000000068D4: D3F30008 1C222D76
	v_fma_f32 v60, v12, v4, v60                                // 0000000068DC: D1CB003C 04F2090C
	v_fma_f32 v61, v13, v4, v61                                // 0000000068E4: D1CB003D 04F6090D
	v_fma_f32 v62, v14, v4, v62                                // 0000000068EC: D1CB003E 04FA090E
	v_fma_f32 v63, v15, v4, v63                                // 0000000068F4: D1CB003F 04FE090F
	v_mfma_f32_16x16x32_fp8_fp8 v[12:15], a[120:121], a[16:17], 0// 0000000068FC: D3F3000C 1A022178
	v_mfma_f32_16x16x32_fp8_fp8 v[12:15], a[122:123], a[18:19], v[12:15]// 000000006904: D3F3000C 1C32257A
	buffer_load_dwordx4 a[44:47], v43, s[24:27], 0 offen offset:1024// 00000000690C: E05C1400 80862C2B
	v_mfma_f32_16x16x32_fp8_fp8 v[12:15], a[124:125], a[20:21], v[12:15]// 000000006914: D3F3000C 1C32297C
	v_mfma_f32_16x16x32_fp8_fp8 v[12:15], a[126:127], a[22:23], v[12:15]// 00000000691C: D3F3000C 1C322D7E
	v_fma_f32 v68, v8, v6, v68                                 // 000000006924: D1CB0044 05120D08
	v_fma_f32 v69, v9, v6, v69                                 // 00000000692C: D1CB0045 05160D09
	v_fma_f32 v70, v10, v6, v70                                // 000000006934: D1CB0046 051A0D0A
	v_fma_f32 v71, v11, v6, v71                                // 00000000693C: D1CB0047 051E0D0B
	v_mul_f32_dpp v4, v26, v36 row_newbcast:2 row_mask:0xf bank_mask:0xf// 000000006944: 0A0848FA FF01521A
	v_mfma_f32_16x16x32_fp8_fp8 v[8:11], a[128:129], a[16:17], 0// 00000000694C: D3F30008 1A022180
	v_mfma_f32_16x16x32_fp8_fp8 v[8:11], a[130:131], a[18:19], v[8:11]// 000000006954: D3F30008 1C222582
	buffer_load_dwordx4 a[48:51], v44, s[24:27], 0 offen       // 00000000695C: E05C1000 8086302C
	v_mfma_f32_16x16x32_fp8_fp8 v[8:11], a[132:133], a[20:21], v[8:11]// 000000006964: D3F30008 1C222984
	v_mfma_f32_16x16x32_fp8_fp8 v[8:11], a[134:135], a[22:23], v[8:11]// 00000000696C: D3F30008 1C222D86
	v_fma_f32 v76, v12, v6, v76                                // 000000006974: D1CB004C 05320D0C
	v_fma_f32 v77, v13, v6, v77                                // 00000000697C: D1CB004D 05360D0D
	v_fma_f32 v78, v14, v6, v78                                // 000000006984: D1CB004E 053A0D0E
	v_fma_f32 v79, v15, v6, v79                                // 00000000698C: D1CB004F 053E0D0F
	v_mfma_f32_16x16x32_fp8_fp8 v[12:15], a[136:137], a[16:17], 0// 000000006994: D3F3000C 1A022188
	v_mfma_f32_16x16x32_fp8_fp8 v[12:15], a[138:139], a[18:19], v[12:15]// 00000000699C: D3F3000C 1C32258A
	buffer_load_dwordx4 a[52:55], v44, s[24:27], 0 offen offset:1024// 0000000069A4: E05C1400 8086342C
	v_mfma_f32_16x16x32_fp8_fp8 v[12:15], a[140:141], a[20:21], v[12:15]// 0000000069AC: D3F3000C 1C32298C
	v_mfma_f32_16x16x32_fp8_fp8 v[12:15], a[142:143], a[22:23], v[12:15]// 0000000069B4: D3F3000C 1C322D8E
	v_fma_f32 v84, v8, v4, v84                                 // 0000000069BC: D1CB0054 05520908
	v_fma_f32 v85, v9, v4, v85                                 // 0000000069C4: D1CB0055 05560909
	v_fma_f32 v86, v10, v4, v86                                // 0000000069CC: D1CB0056 055A090A
	v_fma_f32 v87, v11, v4, v87                                // 0000000069D4: D1CB0057 055E090B
	v_mul_f32_dpp v6, v26, v36 row_newbcast:3 row_mask:0xf bank_mask:0xf// 0000000069DC: 0A0C48FA FF01531A
	v_mfma_f32_16x16x32_fp8_fp8 v[8:11], a[144:145], a[16:17], 0// 0000000069E4: D3F30008 1A022190
	v_mfma_f32_16x16x32_fp8_fp8 v[8:11], a[146:147], a[18:19], v[8:11]// 0000000069EC: D3F30008 1C222592
	buffer_load_dwordx4 a[56:59], v45, s[24:27], 0 offen       // 0000000069F4: E05C1000 8086382D
	v_mfma_f32_16x16x32_fp8_fp8 v[8:11], a[148:149], a[20:21], v[8:11]// 0000000069FC: D3F30008 1C222994
	v_mfma_f32_16x16x32_fp8_fp8 v[8:11], a[150:151], a[22:23], v[8:11]// 000000006A04: D3F30008 1C222D96
	v_fma_f32 v92, v12, v4, v92                                // 000000006A0C: D1CB005C 0572090C
	v_fma_f32 v93, v13, v4, v93                                // 000000006A14: D1CB005D 0576090D
	v_fma_f32 v94, v14, v4, v94                                // 000000006A1C: D1CB005E 057A090E
	v_fma_f32 v95, v15, v4, v95                                // 000000006A24: D1CB005F 057E090F
	v_mfma_f32_16x16x32_fp8_fp8 v[12:15], a[152:153], a[16:17], 0// 000000006A2C: D3F3000C 1A022198
	v_mfma_f32_16x16x32_fp8_fp8 v[12:15], a[154:155], a[18:19], v[12:15]// 000000006A34: D3F3000C 1C32259A
	buffer_load_dwordx4 a[60:63], v45, s[24:27], 0 offen offset:1024// 000000006A3C: E05C1400 80863C2D
	v_mfma_f32_16x16x32_fp8_fp8 v[12:15], a[156:157], a[20:21], v[12:15]// 000000006A44: D3F3000C 1C32299C
	v_mfma_f32_16x16x32_fp8_fp8 v[12:15], a[158:159], a[22:23], v[12:15]// 000000006A4C: D3F3000C 1C322D9E
	v_fma_f32 v100, v8, v6, v100                               // 000000006A54: D1CB0064 05920D08
	v_fma_f32 v101, v9, v6, v101                               // 000000006A5C: D1CB0065 05960D09
	v_fma_f32 v102, v10, v6, v102                              // 000000006A64: D1CB0066 059A0D0A
	v_fma_f32 v103, v11, v6, v103                              // 000000006A6C: D1CB0067 059E0D0B
	v_mul_f32_dpp v4, v26, v37 row_newbcast:0 row_mask:0xf bank_mask:0xf// 000000006A74: 0A084AFA FF01501A
	v_mfma_f32_16x16x32_fp8_fp8 v[8:11], a[96:97], a[24:25], 0 // 000000006A7C: D3F30008 1A023160
	v_mfma_f32_16x16x32_fp8_fp8 v[8:11], a[98:99], a[26:27], v[8:11]// 000000006A84: D3F30008 1C223562
	buffer_load_dwordx4 a[64:67], v46, s[24:27], 0 offen       // 000000006A8C: E05C1000 8086402E
	v_mfma_f32_16x16x32_fp8_fp8 v[8:11], a[100:101], a[28:29], v[8:11]// 000000006A94: D3F30008 1C223964
	v_mfma_f32_16x16x32_fp8_fp8 v[8:11], a[102:103], a[30:31], v[8:11]// 000000006A9C: D3F30008 1C223D66
	v_fma_f32 v108, v12, v6, v108                              // 000000006AA4: D1CB006C 05B20D0C
	v_fma_f32 v109, v13, v6, v109                              // 000000006AAC: D1CB006D 05B60D0D
	v_fma_f32 v110, v14, v6, v110                              // 000000006AB4: D1CB006E 05BA0D0E
	v_fma_f32 v111, v15, v6, v111                              // 000000006ABC: D1CB006F 05BE0D0F
	v_mfma_f32_16x16x32_fp8_fp8 v[12:15], a[104:105], a[24:25], 0// 000000006AC4: D3F3000C 1A023168
	v_mfma_f32_16x16x32_fp8_fp8 v[12:15], a[106:107], a[26:27], v[12:15]// 000000006ACC: D3F3000C 1C32356A
	buffer_load_dwordx4 a[68:71], v46, s[24:27], 0 offen offset:1024// 000000006AD4: E05C1400 8086442E
	v_mfma_f32_16x16x32_fp8_fp8 v[12:15], a[108:109], a[28:29], v[12:15]// 000000006ADC: D3F3000C 1C32396C
	v_mfma_f32_16x16x32_fp8_fp8 v[12:15], a[110:111], a[30:31], v[12:15]// 000000006AE4: D3F3000C 1C323D6E
	v_fma_f32 v56, v8, v4, v56                                 // 000000006AEC: D1CB0038 04E20908
	v_fma_f32 v57, v9, v4, v57                                 // 000000006AF4: D1CB0039 04E60909
	v_fma_f32 v58, v10, v4, v58                                // 000000006AFC: D1CB003A 04EA090A
	v_fma_f32 v59, v11, v4, v59                                // 000000006B04: D1CB003B 04EE090B
	v_mul_f32_dpp v6, v26, v37 row_newbcast:1 row_mask:0xf bank_mask:0xf// 000000006B0C: 0A0C4AFA FF01511A
	v_mfma_f32_16x16x32_fp8_fp8 v[8:11], a[112:113], a[24:25], 0// 000000006B14: D3F30008 1A023170
	v_mfma_f32_16x16x32_fp8_fp8 v[8:11], a[114:115], a[26:27], v[8:11]// 000000006B1C: D3F30008 1C223572
	buffer_load_dwordx4 a[72:75], v47, s[24:27], 0 offen       // 000000006B24: E05C1000 8086482F
	v_mfma_f32_16x16x32_fp8_fp8 v[8:11], a[116:117], a[28:29], v[8:11]// 000000006B2C: D3F30008 1C223974
	v_mfma_f32_16x16x32_fp8_fp8 v[8:11], a[118:119], a[30:31], v[8:11]// 000000006B34: D3F30008 1C223D76
	v_fma_f32 v64, v12, v4, v64                                // 000000006B3C: D1CB0040 0502090C
	v_fma_f32 v65, v13, v4, v65                                // 000000006B44: D1CB0041 0506090D
	v_fma_f32 v66, v14, v4, v66                                // 000000006B4C: D1CB0042 050A090E
	v_fma_f32 v67, v15, v4, v67                                // 000000006B54: D1CB0043 050E090F
	v_mfma_f32_16x16x32_fp8_fp8 v[12:15], a[120:121], a[24:25], 0// 000000006B5C: D3F3000C 1A023178
	v_mfma_f32_16x16x32_fp8_fp8 v[12:15], a[122:123], a[26:27], v[12:15]// 000000006B64: D3F3000C 1C32357A
	buffer_load_dwordx4 a[76:79], v47, s[24:27], 0 offen offset:1024// 000000006B6C: E05C1400 80864C2F
	v_mfma_f32_16x16x32_fp8_fp8 v[12:15], a[124:125], a[28:29], v[12:15]// 000000006B74: D3F3000C 1C32397C
	v_mfma_f32_16x16x32_fp8_fp8 v[12:15], a[126:127], a[30:31], v[12:15]// 000000006B7C: D3F3000C 1C323D7E
	v_fma_f32 v72, v8, v6, v72                                 // 000000006B84: D1CB0048 05220D08
	v_fma_f32 v73, v9, v6, v73                                 // 000000006B8C: D1CB0049 05260D09
	v_fma_f32 v74, v10, v6, v74                                // 000000006B94: D1CB004A 052A0D0A
	v_fma_f32 v75, v11, v6, v75                                // 000000006B9C: D1CB004B 052E0D0B
	v_mul_f32_dpp v4, v26, v37 row_newbcast:2 row_mask:0xf bank_mask:0xf// 000000006BA4: 0A084AFA FF01521A
	v_mfma_f32_16x16x32_fp8_fp8 v[8:11], a[128:129], a[24:25], 0// 000000006BAC: D3F30008 1A023180
	v_mfma_f32_16x16x32_fp8_fp8 v[8:11], a[130:131], a[26:27], v[8:11]// 000000006BB4: D3F30008 1C223582
	buffer_load_dwordx4 a[80:83], v48, s[24:27], 0 offen       // 000000006BBC: E05C1000 80865030
	v_mfma_f32_16x16x32_fp8_fp8 v[8:11], a[132:133], a[28:29], v[8:11]// 000000006BC4: D3F30008 1C223984
	v_mfma_f32_16x16x32_fp8_fp8 v[8:11], a[134:135], a[30:31], v[8:11]// 000000006BCC: D3F30008 1C223D86
	v_fma_f32 v80, v12, v6, v80                                // 000000006BD4: D1CB0050 05420D0C
	v_fma_f32 v81, v13, v6, v81                                // 000000006BDC: D1CB0051 05460D0D
	v_fma_f32 v82, v14, v6, v82                                // 000000006BE4: D1CB0052 054A0D0E
	v_fma_f32 v83, v15, v6, v83                                // 000000006BEC: D1CB0053 054E0D0F
	v_mfma_f32_16x16x32_fp8_fp8 v[12:15], a[136:137], a[24:25], 0// 000000006BF4: D3F3000C 1A023188
	v_mfma_f32_16x16x32_fp8_fp8 v[12:15], a[138:139], a[26:27], v[12:15]// 000000006BFC: D3F3000C 1C32358A
	buffer_load_dwordx4 a[84:87], v48, s[24:27], 0 offen offset:1024// 000000006C04: E05C1400 80865430
	v_mfma_f32_16x16x32_fp8_fp8 v[12:15], a[140:141], a[28:29], v[12:15]// 000000006C0C: D3F3000C 1C32398C
	v_mfma_f32_16x16x32_fp8_fp8 v[12:15], a[142:143], a[30:31], v[12:15]// 000000006C14: D3F3000C 1C323D8E
	v_fma_f32 v88, v8, v4, v88                                 // 000000006C1C: D1CB0058 05620908
	v_fma_f32 v89, v9, v4, v89                                 // 000000006C24: D1CB0059 05660909
	v_fma_f32 v90, v10, v4, v90                                // 000000006C2C: D1CB005A 056A090A
	v_fma_f32 v91, v11, v4, v91                                // 000000006C34: D1CB005B 056E090B
	v_mul_f32_dpp v6, v26, v37 row_newbcast:3 row_mask:0xf bank_mask:0xf// 000000006C3C: 0A0C4AFA FF01531A
	v_mfma_f32_16x16x32_fp8_fp8 v[8:11], a[144:145], a[24:25], 0// 000000006C44: D3F30008 1A023190
	v_mfma_f32_16x16x32_fp8_fp8 v[8:11], a[146:147], a[26:27], v[8:11]// 000000006C4C: D3F30008 1C223592
	buffer_load_dwordx4 a[88:91], v49, s[24:27], 0 offen       // 000000006C54: E05C1000 80865831
	v_mfma_f32_16x16x32_fp8_fp8 v[8:11], a[148:149], a[28:29], v[8:11]// 000000006C5C: D3F30008 1C223994
	v_mfma_f32_16x16x32_fp8_fp8 v[8:11], a[150:151], a[30:31], v[8:11]// 000000006C64: D3F30008 1C223D96
	v_fma_f32 v96, v12, v4, v96                                // 000000006C6C: D1CB0060 0582090C
	v_fma_f32 v97, v13, v4, v97                                // 000000006C74: D1CB0061 0586090D
	v_fma_f32 v98, v14, v4, v98                                // 000000006C7C: D1CB0062 058A090E
	v_fma_f32 v99, v15, v4, v99                                // 000000006C84: D1CB0063 058E090F
	v_mfma_f32_16x16x32_fp8_fp8 v[12:15], a[152:153], a[24:25], 0// 000000006C8C: D3F3000C 1A023198
	v_mfma_f32_16x16x32_fp8_fp8 v[12:15], a[154:155], a[26:27], v[12:15]// 000000006C94: D3F3000C 1C32359A
	buffer_load_dwordx4 a[92:95], v49, s[24:27], 0 offen offset:1024// 000000006C9C: E05C1400 80865C31
	buffer_load_dword v38, s[20:23], 0 offen lds               // 000000006CA4: E0511000 80050026
	s_add_u32 m0, 0x100, s49                                   // 000000006CAC: 807C31FF 00000100
	v_mfma_f32_16x16x32_fp8_fp8 v[12:15], a[156:157], a[28:29], v[12:15]// 000000006CB4: D3F3000C 1C32399C
	v_mfma_f32_16x16x32_fp8_fp8 v[12:15], a[158:159], a[30:31], v[12:15]// 000000006CBC: D3F3000C 1C323D9E
	buffer_load_dword v39, s[20:23], 0 offen lds               // 000000006CC4: E0511000 80050027
	s_add_u32 m0, 0x200, s49                                   // 000000006CCC: 807C31FF 00000200
	v_fma_f32 v104, v8, v6, v104                               // 000000006CD4: D1CB0068 05A20D08
	v_fma_f32 v105, v9, v6, v105                               // 000000006CDC: D1CB0069 05A60D09
	v_fma_f32 v106, v10, v6, v106                              // 000000006CE4: D1CB006A 05AA0D0A
	v_fma_f32 v107, v11, v6, v107                              // 000000006CEC: D1CB006B 05AE0D0B
	v_fma_f32 v112, v12, v6, v112                              // 000000006CF4: D1CB0070 05C20D0C
	v_fma_f32 v113, v13, v6, v113                              // 000000006CFC: D1CB0071 05C60D0D
	v_fma_f32 v114, v14, v6, v114                              // 000000006D04: D1CB0072 05CA0D0E
	v_fma_f32 v115, v15, v6, v115                              // 000000006D0C: D1CB0073 05CE0D0F
	buffer_load_dword v40, s[20:23], 0 offen lds               // 000000006D14: E0511000 80050028
	s_add_u32 m0, 0x300, s49                                   // 000000006D1C: 807C31FF 00000300
	buffer_load_dword v41, s[20:23], 0 offen lds               // 000000006D24: E0511000 80050029
	s_add_u32 m0, 0, s50                                       // 000000006D2C: 807C3280
	buffer_load_dword v34, v30, s[28:31], 0 offen              // 000000006D30: E0501000 8007221E
	buffer_load_dword v35, v31, s[28:31], 0 offen              // 000000006D38: E0501000 8007231F
	s_waitcnt vmcnt(23)                                        // 000000006D40: BF8C4F77
	s_barrier                                                  // 000000006D44: BF8A0000
	v_mul_f32_dpp v4, v29, v36 row_newbcast:0 row_mask:0xf bank_mask:0xf// 000000006D48: 0A0848FA FF01501D
	v_mfma_f32_16x16x32_fp8_fp8 v[8:11], a[160:161], a[16:17], 0// 000000006D50: D3F30008 1A0221A0
	buffer_load_dword v27, v23, s[32:35], 0 offen              // 000000006D58: E0501000 80081B17
	v_mfma_f32_16x16x32_fp8_fp8 v[8:11], a[162:163], a[18:19], v[8:11]// 000000006D60: D3F30008 1C2225A2
	buffer_load_dwordx4 a[96:99], v42, s[84:87], 0 offen       // 000000006D68: E05C1000 8095602A
	v_mfma_f32_16x16x32_fp8_fp8 v[8:11], a[164:165], a[20:21], v[8:11]// 000000006D70: D3F30008 1C2229A4
	v_mfma_f32_16x16x32_fp8_fp8 v[8:11], a[166:167], a[22:23], v[8:11]// 000000006D78: D3F30008 1C222DA6
	ds_read_b128 a[0:3], v2                                    // 000000006D80: DBFE0000 00000002
	ds_read_b128 a[4:7], v2 offset:64                          // 000000006D88: DBFE0040 04000002
	v_mfma_f32_16x16x32_fp8_fp8 v[12:15], a[168:169], a[16:17], 0// 000000006D90: D3F3000C 1A0221A8
	v_mfma_f32_16x16x32_fp8_fp8 v[12:15], a[170:171], a[18:19], v[12:15]// 000000006D98: D3F3000C 1C3225AA
	buffer_load_dwordx4 a[100:103], v42, s[84:87], 0 offen offset:1024// 000000006DA0: E05C1400 8095642A
	v_mfma_f32_16x16x32_fp8_fp8 v[12:15], a[172:173], a[20:21], v[12:15]// 000000006DA8: D3F3000C 1C3229AC
	v_mfma_f32_16x16x32_fp8_fp8 v[12:15], a[174:175], a[22:23], v[12:15]// 000000006DB0: D3F3000C 1C322DAE
	ds_read_b128 a[8:11], v2 offset:512                        // 000000006DB8: DBFE0200 08000002
	ds_read_b128 a[12:15], v2 offset:576                       // 000000006DC0: DBFE0240 0C000002
	v_fma_f32 v116, v8, v4, v116                               // 000000006DC8: D1CB0074 05D20908
	v_fma_f32 v117, v9, v4, v117                               // 000000006DD0: D1CB0075 05D60909
	v_fma_f32 v118, v10, v4, v118                              // 000000006DD8: D1CB0076 05DA090A
	v_fma_f32 v119, v11, v4, v119                              // 000000006DE0: D1CB0077 05DE090B
	v_mul_f32_dpp v6, v29, v36 row_newbcast:1 row_mask:0xf bank_mask:0xf// 000000006DE8: 0A0C48FA FF01511D
	v_mfma_f32_16x16x32_fp8_fp8 v[8:11], a[176:177], a[16:17], 0// 000000006DF0: D3F30008 1A0221B0
	v_mfma_f32_16x16x32_fp8_fp8 v[8:11], a[178:179], a[18:19], v[8:11]// 000000006DF8: D3F30008 1C2225B2
	buffer_load_dwordx4 a[104:107], v43, s[84:87], 0 offen     // 000000006E00: E05C1000 8095682B
	v_mfma_f32_16x16x32_fp8_fp8 v[8:11], a[180:181], a[20:21], v[8:11]// 000000006E08: D3F30008 1C2229B4
	v_mfma_f32_16x16x32_fp8_fp8 v[8:11], a[182:183], a[22:23], v[8:11]// 000000006E10: D3F30008 1C222DB6
	v_fma_f32 v124, v12, v4, v124                              // 000000006E18: D1CB007C 05F2090C
	v_fma_f32 v125, v13, v4, v125                              // 000000006E20: D1CB007D 05F6090D
	v_fma_f32 v126, v14, v4, v126                              // 000000006E28: D1CB007E 05FA090E
	v_fma_f32 v127, v15, v4, v127                              // 000000006E30: D1CB007F 05FE090F
	v_mfma_f32_16x16x32_fp8_fp8 v[12:15], a[184:185], a[16:17], 0// 000000006E38: D3F3000C 1A0221B8
	v_mfma_f32_16x16x32_fp8_fp8 v[12:15], a[186:187], a[18:19], v[12:15]// 000000006E40: D3F3000C 1C3225BA
	buffer_load_dwordx4 a[108:111], v43, s[84:87], 0 offen offset:1024// 000000006E48: E05C1400 80956C2B
	v_mfma_f32_16x16x32_fp8_fp8 v[12:15], a[188:189], a[20:21], v[12:15]// 000000006E50: D3F3000C 1C3229BC
	v_mfma_f32_16x16x32_fp8_fp8 v[12:15], a[190:191], a[22:23], v[12:15]// 000000006E58: D3F3000C 1C322DBE
	v_fma_f32 v132, v8, v6, v132                               // 000000006E60: D1CB0084 06120D08
	v_fma_f32 v133, v9, v6, v133                               // 000000006E68: D1CB0085 06160D09
	v_fma_f32 v134, v10, v6, v134                              // 000000006E70: D1CB0086 061A0D0A
	v_fma_f32 v135, v11, v6, v135                              // 000000006E78: D1CB0087 061E0D0B
	v_mul_f32_dpp v4, v29, v36 row_newbcast:2 row_mask:0xf bank_mask:0xf// 000000006E80: 0A0848FA FF01521D
	v_mfma_f32_16x16x32_fp8_fp8 v[8:11], a[192:193], a[16:17], 0// 000000006E88: D3F30008 1A0221C0
	v_mfma_f32_16x16x32_fp8_fp8 v[8:11], a[194:195], a[18:19], v[8:11]// 000000006E90: D3F30008 1C2225C2
	buffer_load_dwordx4 a[112:115], v44, s[84:87], 0 offen     // 000000006E98: E05C1000 8095702C
	v_mfma_f32_16x16x32_fp8_fp8 v[8:11], a[196:197], a[20:21], v[8:11]// 000000006EA0: D3F30008 1C2229C4
	v_mfma_f32_16x16x32_fp8_fp8 v[8:11], a[198:199], a[22:23], v[8:11]// 000000006EA8: D3F30008 1C222DC6
	v_fma_f32 v140, v12, v6, v140                              // 000000006EB0: D1CB008C 06320D0C
	v_fma_f32 v141, v13, v6, v141                              // 000000006EB8: D1CB008D 06360D0D
	v_fma_f32 v142, v14, v6, v142                              // 000000006EC0: D1CB008E 063A0D0E
	v_fma_f32 v143, v15, v6, v143                              // 000000006EC8: D1CB008F 063E0D0F
	v_mfma_f32_16x16x32_fp8_fp8 v[12:15], a[200:201], a[16:17], 0// 000000006ED0: D3F3000C 1A0221C8
	v_mfma_f32_16x16x32_fp8_fp8 v[12:15], a[202:203], a[18:19], v[12:15]// 000000006ED8: D3F3000C 1C3225CA
	buffer_load_dwordx4 a[116:119], v44, s[84:87], 0 offen offset:1024// 000000006EE0: E05C1400 8095742C
	v_mfma_f32_16x16x32_fp8_fp8 v[12:15], a[204:205], a[20:21], v[12:15]// 000000006EE8: D3F3000C 1C3229CC
	v_mfma_f32_16x16x32_fp8_fp8 v[12:15], a[206:207], a[22:23], v[12:15]// 000000006EF0: D3F3000C 1C322DCE
	v_fma_f32 v148, v8, v4, v148                               // 000000006EF8: D1CB0094 06520908
	v_fma_f32 v149, v9, v4, v149                               // 000000006F00: D1CB0095 06560909
	v_fma_f32 v150, v10, v4, v150                              // 000000006F08: D1CB0096 065A090A
	v_fma_f32 v151, v11, v4, v151                              // 000000006F10: D1CB0097 065E090B
	v_mul_f32_dpp v6, v29, v36 row_newbcast:3 row_mask:0xf bank_mask:0xf// 000000006F18: 0A0C48FA FF01531D
	v_mfma_f32_16x16x32_fp8_fp8 v[8:11], a[208:209], a[16:17], 0// 000000006F20: D3F30008 1A0221D0
	v_mfma_f32_16x16x32_fp8_fp8 v[8:11], a[210:211], a[18:19], v[8:11]// 000000006F28: D3F30008 1C2225D2
	buffer_load_dwordx4 a[120:123], v45, s[84:87], 0 offen     // 000000006F30: E05C1000 8095782D
	v_mfma_f32_16x16x32_fp8_fp8 v[8:11], a[212:213], a[20:21], v[8:11]// 000000006F38: D3F30008 1C2229D4
	v_mfma_f32_16x16x32_fp8_fp8 v[8:11], a[214:215], a[22:23], v[8:11]// 000000006F40: D3F30008 1C222DD6
	v_fma_f32 v156, v12, v4, v156                              // 000000006F48: D1CB009C 0672090C
	v_fma_f32 v157, v13, v4, v157                              // 000000006F50: D1CB009D 0676090D
	v_fma_f32 v158, v14, v4, v158                              // 000000006F58: D1CB009E 067A090E
	v_fma_f32 v159, v15, v4, v159                              // 000000006F60: D1CB009F 067E090F
	v_mfma_f32_16x16x32_fp8_fp8 v[12:15], a[216:217], a[16:17], 0// 000000006F68: D3F3000C 1A0221D8
	v_mfma_f32_16x16x32_fp8_fp8 v[12:15], a[218:219], a[18:19], v[12:15]// 000000006F70: D3F3000C 1C3225DA
	buffer_load_dwordx4 a[124:127], v45, s[84:87], 0 offen offset:1024// 000000006F78: E05C1400 80957C2D
	v_mfma_f32_16x16x32_fp8_fp8 v[12:15], a[220:221], a[20:21], v[12:15]// 000000006F80: D3F3000C 1C3229DC
	v_mfma_f32_16x16x32_fp8_fp8 v[12:15], a[222:223], a[22:23], v[12:15]// 000000006F88: D3F3000C 1C322DDE
	v_fma_f32 v164, v8, v6, v164                               // 000000006F90: D1CB00A4 06920D08
	v_fma_f32 v165, v9, v6, v165                               // 000000006F98: D1CB00A5 06960D09
	v_fma_f32 v166, v10, v6, v166                              // 000000006FA0: D1CB00A6 069A0D0A
	v_fma_f32 v167, v11, v6, v167                              // 000000006FA8: D1CB00A7 069E0D0B
	v_mul_f32_dpp v4, v29, v37 row_newbcast:0 row_mask:0xf bank_mask:0xf// 000000006FB0: 0A084AFA FF01501D
	v_mfma_f32_16x16x32_fp8_fp8 v[8:11], a[160:161], a[24:25], 0// 000000006FB8: D3F30008 1A0231A0
	v_mfma_f32_16x16x32_fp8_fp8 v[8:11], a[162:163], a[26:27], v[8:11]// 000000006FC0: D3F30008 1C2235A2
	buffer_load_dwordx4 a[128:131], v46, s[84:87], 0 offen     // 000000006FC8: E05C1000 8095802E
	v_mfma_f32_16x16x32_fp8_fp8 v[8:11], a[164:165], a[28:29], v[8:11]// 000000006FD0: D3F30008 1C2239A4
	v_mfma_f32_16x16x32_fp8_fp8 v[8:11], a[166:167], a[30:31], v[8:11]// 000000006FD8: D3F30008 1C223DA6
	v_fma_f32 v172, v12, v6, v172                              // 000000006FE0: D1CB00AC 06B20D0C
	v_fma_f32 v173, v13, v6, v173                              // 000000006FE8: D1CB00AD 06B60D0D
	v_fma_f32 v174, v14, v6, v174                              // 000000006FF0: D1CB00AE 06BA0D0E
	v_fma_f32 v175, v15, v6, v175                              // 000000006FF8: D1CB00AF 06BE0D0F
	v_mfma_f32_16x16x32_fp8_fp8 v[12:15], a[168:169], a[24:25], 0// 000000007000: D3F3000C 1A0231A8
	v_mfma_f32_16x16x32_fp8_fp8 v[12:15], a[170:171], a[26:27], v[12:15]// 000000007008: D3F3000C 1C3235AA
	buffer_load_dwordx4 a[132:135], v46, s[84:87], 0 offen offset:1024// 000000007010: E05C1400 8095842E
	v_mfma_f32_16x16x32_fp8_fp8 v[12:15], a[172:173], a[28:29], v[12:15]// 000000007018: D3F3000C 1C3239AC
	v_mfma_f32_16x16x32_fp8_fp8 v[12:15], a[174:175], a[30:31], v[12:15]// 000000007020: D3F3000C 1C323DAE
	v_fma_f32 v120, v8, v4, v120                               // 000000007028: D1CB0078 05E20908
	v_fma_f32 v121, v9, v4, v121                               // 000000007030: D1CB0079 05E60909
	v_fma_f32 v122, v10, v4, v122                              // 000000007038: D1CB007A 05EA090A
	v_fma_f32 v123, v11, v4, v123                              // 000000007040: D1CB007B 05EE090B
	v_mul_f32_dpp v6, v29, v37 row_newbcast:1 row_mask:0xf bank_mask:0xf// 000000007048: 0A0C4AFA FF01511D
	v_mfma_f32_16x16x32_fp8_fp8 v[8:11], a[176:177], a[24:25], 0// 000000007050: D3F30008 1A0231B0
	v_mfma_f32_16x16x32_fp8_fp8 v[8:11], a[178:179], a[26:27], v[8:11]// 000000007058: D3F30008 1C2235B2
	buffer_load_dwordx4 a[136:139], v47, s[84:87], 0 offen     // 000000007060: E05C1000 8095882F
	v_mfma_f32_16x16x32_fp8_fp8 v[8:11], a[180:181], a[28:29], v[8:11]// 000000007068: D3F30008 1C2239B4
	v_mfma_f32_16x16x32_fp8_fp8 v[8:11], a[182:183], a[30:31], v[8:11]// 000000007070: D3F30008 1C223DB6
	v_fma_f32 v128, v12, v4, v128                              // 000000007078: D1CB0080 0602090C
	v_fma_f32 v129, v13, v4, v129                              // 000000007080: D1CB0081 0606090D
	v_fma_f32 v130, v14, v4, v130                              // 000000007088: D1CB0082 060A090E
	v_fma_f32 v131, v15, v4, v131                              // 000000007090: D1CB0083 060E090F
	v_mfma_f32_16x16x32_fp8_fp8 v[12:15], a[184:185], a[24:25], 0// 000000007098: D3F3000C 1A0231B8
	v_mfma_f32_16x16x32_fp8_fp8 v[12:15], a[186:187], a[26:27], v[12:15]// 0000000070A0: D3F3000C 1C3235BA
	buffer_load_dwordx4 a[140:143], v47, s[84:87], 0 offen offset:1024// 0000000070A8: E05C1400 80958C2F
	v_mfma_f32_16x16x32_fp8_fp8 v[12:15], a[188:189], a[28:29], v[12:15]// 0000000070B0: D3F3000C 1C3239BC
	v_mfma_f32_16x16x32_fp8_fp8 v[12:15], a[190:191], a[30:31], v[12:15]// 0000000070B8: D3F3000C 1C323DBE
	v_fma_f32 v136, v8, v6, v136                               // 0000000070C0: D1CB0088 06220D08
	v_fma_f32 v137, v9, v6, v137                               // 0000000070C8: D1CB0089 06260D09
	v_fma_f32 v138, v10, v6, v138                              // 0000000070D0: D1CB008A 062A0D0A
	v_fma_f32 v139, v11, v6, v139                              // 0000000070D8: D1CB008B 062E0D0B
	v_mul_f32_dpp v4, v29, v37 row_newbcast:2 row_mask:0xf bank_mask:0xf// 0000000070E0: 0A084AFA FF01521D
	v_mfma_f32_16x16x32_fp8_fp8 v[8:11], a[192:193], a[24:25], 0// 0000000070E8: D3F30008 1A0231C0
	v_mfma_f32_16x16x32_fp8_fp8 v[8:11], a[194:195], a[26:27], v[8:11]// 0000000070F0: D3F30008 1C2235C2
	buffer_load_dwordx4 a[144:147], v48, s[84:87], 0 offen     // 0000000070F8: E05C1000 80959030
	v_mfma_f32_16x16x32_fp8_fp8 v[8:11], a[196:197], a[28:29], v[8:11]// 000000007100: D3F30008 1C2239C4
	v_mfma_f32_16x16x32_fp8_fp8 v[8:11], a[198:199], a[30:31], v[8:11]// 000000007108: D3F30008 1C223DC6
	v_fma_f32 v144, v12, v6, v144                              // 000000007110: D1CB0090 06420D0C
	v_fma_f32 v145, v13, v6, v145                              // 000000007118: D1CB0091 06460D0D
	v_fma_f32 v146, v14, v6, v146                              // 000000007120: D1CB0092 064A0D0E
	v_fma_f32 v147, v15, v6, v147                              // 000000007128: D1CB0093 064E0D0F
	v_mfma_f32_16x16x32_fp8_fp8 v[12:15], a[200:201], a[24:25], 0// 000000007130: D3F3000C 1A0231C8
	v_mfma_f32_16x16x32_fp8_fp8 v[12:15], a[202:203], a[26:27], v[12:15]// 000000007138: D3F3000C 1C3235CA
	buffer_load_dwordx4 a[148:151], v48, s[84:87], 0 offen offset:1024// 000000007140: E05C1400 80959430
	v_mfma_f32_16x16x32_fp8_fp8 v[12:15], a[204:205], a[28:29], v[12:15]// 000000007148: D3F3000C 1C3239CC
	v_mfma_f32_16x16x32_fp8_fp8 v[12:15], a[206:207], a[30:31], v[12:15]// 000000007150: D3F3000C 1C323DCE
	v_fma_f32 v152, v8, v4, v152                               // 000000007158: D1CB0098 06620908
	v_fma_f32 v153, v9, v4, v153                               // 000000007160: D1CB0099 06660909
	v_fma_f32 v154, v10, v4, v154                              // 000000007168: D1CB009A 066A090A
	v_fma_f32 v155, v11, v4, v155                              // 000000007170: D1CB009B 066E090B
	v_mul_f32_dpp v6, v29, v37 row_newbcast:3 row_mask:0xf bank_mask:0xf// 000000007178: 0A0C4AFA FF01531D
	v_mfma_f32_16x16x32_fp8_fp8 v[8:11], a[208:209], a[24:25], 0// 000000007180: D3F30008 1A0231D0
	s_add_u32 s60, 0x180, s80                                  // 000000007188: 803C50FF 00000180
	s_cmp_lt_u32 s60, s81                                      // 000000007190: BF0A513C
	s_cselect_b32 s57, s57, 0                                  // 000000007194: 85398039
	s_cselect_b32 s3, s3, 0                                    // 000000007198: 85038003
	v_mfma_f32_16x16x32_fp8_fp8 v[8:11], a[210:211], a[26:27], v[8:11]// 00000000719C: D3F30008 1C2235D2
	buffer_load_dwordx4 a[152:155], v49, s[84:87], 0 offen     // 0000000071A4: E05C1000 80959831
	s_add_u32 s60, 0x100, s80                                  // 0000000071AC: 803C50FF 00000100
	s_cmp_lt_u32 s60, s81                                      // 0000000071B4: BF0A513C
	s_cselect_b32 s58, s58, 0                                  // 0000000071B8: 853A803A
	v_mfma_f32_16x16x32_fp8_fp8 v[8:11], a[212:213], a[28:29], v[8:11]// 0000000071BC: D3F30008 1C2239D4
	s_add_u32 s60, 0x100, s80                                  // 0000000071C4: 803C50FF 00000100
	s_cmp_lt_u32 s60, s81                                      // 0000000071CC: BF0A513C
	s_cselect_b32 s83, s83, 0                                  // 0000000071D0: 85538053
	s_cselect_b32 s4, s4, 0                                    // 0000000071D4: 85048004
	v_mfma_f32_16x16x32_fp8_fp8 v[8:11], a[214:215], a[30:31], v[8:11]// 0000000071D8: D3F30008 1C223DD6
	s_add_u32 s24, s58, s24                                    // 0000000071E0: 8018183A
	s_addc_u32 s25, 0, s25                                     // 0000000071E4: 82191980
	v_fma_f32 v160, v12, v4, v160                              // 0000000071E8: D1CB00A0 0682090C
	v_fma_f32 v161, v13, v4, v161                              // 0000000071F0: D1CB00A1 0686090D
	v_fma_f32 v162, v14, v4, v162                              // 0000000071F8: D1CB00A2 068A090E
	v_fma_f32 v163, v15, v4, v163                              // 000000007200: D1CB00A3 068E090F
	v_mfma_f32_16x16x32_fp8_fp8 v[12:15], a[216:217], a[24:25], 0// 000000007208: D3F3000C 1A0231D8
	s_add_u32 s20, s57, s20                                    // 000000007210: 80141439
	s_addc_u32 s21, 0, s21                                     // 000000007214: 82151580
	s_add_u32 s28, s3, s28                                     // 000000007218: 801C1C03
	s_addc_u32 s29, 0, s29                                     // 00000000721C: 821D1D80
	v_mfma_f32_16x16x32_fp8_fp8 v[12:15], a[218:219], a[26:27], v[12:15]// 000000007220: D3F3000C 1C3235DA
	buffer_load_dwordx4 a[156:159], v49, s[84:87], 0 offen offset:1024// 000000007228: E05C1400 80959C31
	s_add_u32 s84, s83, s84                                    // 000000007230: 80545453
	s_addc_u32 s85, 0, s85                                     // 000000007234: 82555580
	v_mfma_f32_16x16x32_fp8_fp8 v[12:15], a[220:221], a[28:29], v[12:15]// 000000007238: D3F3000C 1C3239DC
	s_add_u32 s32, s4, s32                                     // 000000007240: 80202004
	s_addc_u32 s33, 0, s33                                     // 000000007244: 82212180
	v_mfma_f32_16x16x32_fp8_fp8 v[12:15], a[222:223], a[30:31], v[12:15]// 000000007248: D3F3000C 1C323DDE
	v_fma_f32 v168, v8, v6, v168                               // 000000007250: D1CB00A8 06A20D08
	v_fma_f32 v169, v9, v6, v169                               // 000000007258: D1CB00A9 06A60D09
	v_fma_f32 v170, v10, v6, v170                              // 000000007260: D1CB00AA 06AA0D0A
	v_fma_f32 v171, v11, v6, v171                              // 000000007268: D1CB00AB 06AE0D0B
	v_fma_f32 v176, v12, v6, v176                              // 000000007270: D1CB00B0 06C20D0C
	v_fma_f32 v177, v13, v6, v177                              // 000000007278: D1CB00B1 06C60D0D
	v_fma_f32 v178, v14, v6, v178                              // 000000007280: D1CB00B2 06CA0D0E
	v_fma_f32 v179, v15, v6, v179                              // 000000007288: D1CB00B3 06CE0D0F
	s_addk_i32 s80, 0x80                                       // 000000007290: B7500080
	s_cmp_lt_i32 s80, s81                                      // 000000007294: BF045150
	s_cbranch_scc0 label_1228                                  // 000000007298: BF840001
	s_branch label_0279                                        // 00000000729C: BF82F051

00000000000072a0 <label_1228>:
	s_cmp_eq_u32 s88, 0                                        // 0000000072A0: BF068058
	s_cbranch_scc0 label_1ACD                                  // 0000000072A4: BF8408A3
	s_cmp_eq_u32 s89, 0                                        // 0000000072A8: BF068059
	s_cbranch_scc1 label_14B1                                  // 0000000072AC: BF850285
	v_mov_b32_e32 v8, v1                                       // 0000000072B0: 7E100301
	v_mov_b32_e32 v9, v1                                       // 0000000072B4: 7E120301
	s_mov_b32 s60, s6                                          // 0000000072B8: BEBC0006
	s_mov_b32 s61, s6                                          // 0000000072BC: BEBD0006
	v_pk_mul_f32 v[4:5], v[52:53], v[52:53]                    // 0000000072C0: D3B14004 18026934
	v_pk_mul_f32 v[6:7], v[54:55], v[54:55]                    // 0000000072C8: D3B14006 18026D36
	v_pk_fma_f32 v[4:5], v[4:5], s[78:79], v[8:9]              // 0000000072D0: D3B04004 1C209D04
	v_pk_fma_f32 v[6:7], v[6:7], s[78:79], v[8:9]              // 0000000072D8: D3B04006 1C209D06
	v_pk_mul_f32 v[4:5], v[4:5], v[52:53]                      // 0000000072E0: D3B14004 18026904
	v_pk_mul_f32 v[6:7], v[6:7], v[54:55]                      // 0000000072E8: D3B14006 18026D06
	v_pk_mul_f32 v[4:5], v[4:5], s[60:61]                      // 0000000072F0: D3B14004 18007904
	v_pk_mul_f32 v[6:7], v[6:7], s[60:61]                      // 0000000072F8: D3B14006 18007906
	v_exp_f32_e32 v4, v4                                       // 000000007300: 7E084104
	v_exp_f32_e32 v5, v5                                       // 000000007304: 7E0A4105
	v_exp_f32_e32 v6, v6                                       // 000000007308: 7E0C4106
	v_exp_f32_e32 v7, v7                                       // 00000000730C: 7E0E4107
	v_add_f32_e64 v4, v4, 1.0                                  // 000000007310: D1010004 0001E504
	v_add_f32_e64 v5, v5, 1.0                                  // 000000007318: D1010005 0001E505
	v_add_f32_e64 v6, v6, 1.0                                  // 000000007320: D1010006 0001E506
	v_add_f32_e64 v7, v7, 1.0                                  // 000000007328: D1010007 0001E507
	v_rcp_f32_e32 v4, v4                                       // 000000007330: 7E084504
	v_rcp_f32_e32 v5, v5                                       // 000000007334: 7E0A4505
	v_rcp_f32_e32 v6, v6                                       // 000000007338: 7E0C4506
	v_rcp_f32_e32 v7, v7                                       // 00000000733C: 7E0E4507
	v_mul_f32_e32 v52, v52, v4                                 // 000000007340: 0A680934
	v_mul_f32_e32 v53, v53, v5                                 // 000000007344: 0A6A0B35
	v_mul_f32_e32 v54, v54, v6                                 // 000000007348: 0A6C0D36
	v_mul_f32_e32 v55, v55, v7                                 // 00000000734C: 0A6E0F37
	v_mul_f32_e32 v52, v52, v116                               // 000000007350: 0A68E934
	v_mul_f32_e32 v53, v53, v117                               // 000000007354: 0A6AEB35
	v_mul_f32_e32 v54, v54, v118                               // 000000007358: 0A6CED36
	v_mul_f32_e32 v55, v55, v119                               // 00000000735C: 0A6EEF37
	v_pk_mul_f32 v[4:5], v[56:57], v[56:57]                    // 000000007360: D3B14004 18027138
	v_pk_mul_f32 v[6:7], v[58:59], v[58:59]                    // 000000007368: D3B14006 1802753A
	v_pk_fma_f32 v[4:5], v[4:5], s[78:79], v[8:9]              // 000000007370: D3B04004 1C209D04
	v_pk_fma_f32 v[6:7], v[6:7], s[78:79], v[8:9]              // 000000007378: D3B04006 1C209D06
	v_pk_mul_f32 v[4:5], v[4:5], v[56:57]                      // 000000007380: D3B14004 18027104
	v_pk_mul_f32 v[6:7], v[6:7], v[58:59]                      // 000000007388: D3B14006 18027506
	v_pk_mul_f32 v[4:5], v[4:5], s[60:61]                      // 000000007390: D3B14004 18007904
	v_pk_mul_f32 v[6:7], v[6:7], s[60:61]                      // 000000007398: D3B14006 18007906
	v_exp_f32_e32 v4, v4                                       // 0000000073A0: 7E084104
	v_exp_f32_e32 v5, v5                                       // 0000000073A4: 7E0A4105
	v_exp_f32_e32 v6, v6                                       // 0000000073A8: 7E0C4106
	v_exp_f32_e32 v7, v7                                       // 0000000073AC: 7E0E4107
	v_add_f32_e64 v4, v4, 1.0                                  // 0000000073B0: D1010004 0001E504
	v_add_f32_e64 v5, v5, 1.0                                  // 0000000073B8: D1010005 0001E505
	v_add_f32_e64 v6, v6, 1.0                                  // 0000000073C0: D1010006 0001E506
	v_add_f32_e64 v7, v7, 1.0                                  // 0000000073C8: D1010007 0001E507
	v_rcp_f32_e32 v4, v4                                       // 0000000073D0: 7E084504
	v_rcp_f32_e32 v5, v5                                       // 0000000073D4: 7E0A4505
	v_rcp_f32_e32 v6, v6                                       // 0000000073D8: 7E0C4506
	v_rcp_f32_e32 v7, v7                                       // 0000000073DC: 7E0E4507
	v_mul_f32_e32 v56, v56, v4                                 // 0000000073E0: 0A700938
	v_mul_f32_e32 v57, v57, v5                                 // 0000000073E4: 0A720B39
	v_mul_f32_e32 v58, v58, v6                                 // 0000000073E8: 0A740D3A
	v_mul_f32_e32 v59, v59, v7                                 // 0000000073EC: 0A760F3B
	v_mul_f32_e32 v56, v56, v120                               // 0000000073F0: 0A70F138
	v_mul_f32_e32 v57, v57, v121                               // 0000000073F4: 0A72F339
	v_mul_f32_e32 v58, v58, v122                               // 0000000073F8: 0A74F53A
	v_mul_f32_e32 v59, v59, v123                               // 0000000073FC: 0A76F73B
	v_pk_mul_f32 v[4:5], v[60:61], v[60:61]                    // 000000007400: D3B14004 1802793C
	v_pk_mul_f32 v[6:7], v[62:63], v[62:63]                    // 000000007408: D3B14006 18027D3E
	v_pk_fma_f32 v[4:5], v[4:5], s[78:79], v[8:9]              // 000000007410: D3B04004 1C209D04
	v_pk_fma_f32 v[6:7], v[6:7], s[78:79], v[8:9]              // 000000007418: D3B04006 1C209D06
	v_pk_mul_f32 v[4:5], v[4:5], v[60:61]                      // 000000007420: D3B14004 18027904
	v_pk_mul_f32 v[6:7], v[6:7], v[62:63]                      // 000000007428: D3B14006 18027D06
	v_pk_mul_f32 v[4:5], v[4:5], s[60:61]                      // 000000007430: D3B14004 18007904
	v_pk_mul_f32 v[6:7], v[6:7], s[60:61]                      // 000000007438: D3B14006 18007906
	v_exp_f32_e32 v4, v4                                       // 000000007440: 7E084104
	v_exp_f32_e32 v5, v5                                       // 000000007444: 7E0A4105
	v_exp_f32_e32 v6, v6                                       // 000000007448: 7E0C4106
	v_exp_f32_e32 v7, v7                                       // 00000000744C: 7E0E4107
	v_add_f32_e64 v4, v4, 1.0                                  // 000000007450: D1010004 0001E504
	v_add_f32_e64 v5, v5, 1.0                                  // 000000007458: D1010005 0001E505
	v_add_f32_e64 v6, v6, 1.0                                  // 000000007460: D1010006 0001E506
	v_add_f32_e64 v7, v7, 1.0                                  // 000000007468: D1010007 0001E507
	v_rcp_f32_e32 v4, v4                                       // 000000007470: 7E084504
	v_rcp_f32_e32 v5, v5                                       // 000000007474: 7E0A4505
	v_rcp_f32_e32 v6, v6                                       // 000000007478: 7E0C4506
	v_rcp_f32_e32 v7, v7                                       // 00000000747C: 7E0E4507
	v_mul_f32_e32 v60, v60, v4                                 // 000000007480: 0A78093C
	v_mul_f32_e32 v61, v61, v5                                 // 000000007484: 0A7A0B3D
	v_mul_f32_e32 v62, v62, v6                                 // 000000007488: 0A7C0D3E
	v_mul_f32_e32 v63, v63, v7                                 // 00000000748C: 0A7E0F3F
	v_mul_f32_e32 v60, v60, v124                               // 000000007490: 0A78F93C
	v_mul_f32_e32 v61, v61, v125                               // 000000007494: 0A7AFB3D
	v_mul_f32_e32 v62, v62, v126                               // 000000007498: 0A7CFD3E
	v_mul_f32_e32 v63, v63, v127                               // 00000000749C: 0A7EFF3F
	v_pk_mul_f32 v[4:5], v[64:65], v[64:65]                    // 0000000074A0: D3B14004 18028140
	v_pk_mul_f32 v[6:7], v[66:67], v[66:67]                    // 0000000074A8: D3B14006 18028542
	v_pk_fma_f32 v[4:5], v[4:5], s[78:79], v[8:9]              // 0000000074B0: D3B04004 1C209D04
	v_pk_fma_f32 v[6:7], v[6:7], s[78:79], v[8:9]              // 0000000074B8: D3B04006 1C209D06
	v_pk_mul_f32 v[4:5], v[4:5], v[64:65]                      // 0000000074C0: D3B14004 18028104
	v_pk_mul_f32 v[6:7], v[6:7], v[66:67]                      // 0000000074C8: D3B14006 18028506
	v_pk_mul_f32 v[4:5], v[4:5], s[60:61]                      // 0000000074D0: D3B14004 18007904
	v_pk_mul_f32 v[6:7], v[6:7], s[60:61]                      // 0000000074D8: D3B14006 18007906
	v_exp_f32_e32 v4, v4                                       // 0000000074E0: 7E084104
	v_exp_f32_e32 v5, v5                                       // 0000000074E4: 7E0A4105
	v_exp_f32_e32 v6, v6                                       // 0000000074E8: 7E0C4106
	v_exp_f32_e32 v7, v7                                       // 0000000074EC: 7E0E4107
	v_add_f32_e64 v4, v4, 1.0                                  // 0000000074F0: D1010004 0001E504
	v_add_f32_e64 v5, v5, 1.0                                  // 0000000074F8: D1010005 0001E505
	v_add_f32_e64 v6, v6, 1.0                                  // 000000007500: D1010006 0001E506
	v_add_f32_e64 v7, v7, 1.0                                  // 000000007508: D1010007 0001E507
	v_rcp_f32_e32 v4, v4                                       // 000000007510: 7E084504
	v_rcp_f32_e32 v5, v5                                       // 000000007514: 7E0A4505
	v_rcp_f32_e32 v6, v6                                       // 000000007518: 7E0C4506
	v_rcp_f32_e32 v7, v7                                       // 00000000751C: 7E0E4507
	v_mul_f32_e32 v64, v64, v4                                 // 000000007520: 0A800940
	v_mul_f32_e32 v65, v65, v5                                 // 000000007524: 0A820B41
	v_mul_f32_e32 v66, v66, v6                                 // 000000007528: 0A840D42
	v_mul_f32_e32 v67, v67, v7                                 // 00000000752C: 0A860F43
	v_mul_f32_e32 v64, v64, v128                               // 000000007530: 0A810140
	v_mul_f32_e32 v65, v65, v129                               // 000000007534: 0A830341
	v_mul_f32_e32 v66, v66, v130                               // 000000007538: 0A850542
	v_mul_f32_e32 v67, v67, v131                               // 00000000753C: 0A870743
	v_pk_mul_f32 v[4:5], v[68:69], v[68:69]                    // 000000007540: D3B14004 18028944
	v_pk_mul_f32 v[6:7], v[70:71], v[70:71]                    // 000000007548: D3B14006 18028D46
	v_pk_fma_f32 v[4:5], v[4:5], s[78:79], v[8:9]              // 000000007550: D3B04004 1C209D04
	v_pk_fma_f32 v[6:7], v[6:7], s[78:79], v[8:9]              // 000000007558: D3B04006 1C209D06
	v_pk_mul_f32 v[4:5], v[4:5], v[68:69]                      // 000000007560: D3B14004 18028904
	v_pk_mul_f32 v[6:7], v[6:7], v[70:71]                      // 000000007568: D3B14006 18028D06
	v_pk_mul_f32 v[4:5], v[4:5], s[60:61]                      // 000000007570: D3B14004 18007904
	v_pk_mul_f32 v[6:7], v[6:7], s[60:61]                      // 000000007578: D3B14006 18007906
	v_exp_f32_e32 v4, v4                                       // 000000007580: 7E084104
	v_exp_f32_e32 v5, v5                                       // 000000007584: 7E0A4105
	v_exp_f32_e32 v6, v6                                       // 000000007588: 7E0C4106
	v_exp_f32_e32 v7, v7                                       // 00000000758C: 7E0E4107
	v_add_f32_e64 v4, v4, 1.0                                  // 000000007590: D1010004 0001E504
	v_add_f32_e64 v5, v5, 1.0                                  // 000000007598: D1010005 0001E505
	v_add_f32_e64 v6, v6, 1.0                                  // 0000000075A0: D1010006 0001E506
	v_add_f32_e64 v7, v7, 1.0                                  // 0000000075A8: D1010007 0001E507
	v_rcp_f32_e32 v4, v4                                       // 0000000075B0: 7E084504
	v_rcp_f32_e32 v5, v5                                       // 0000000075B4: 7E0A4505
	v_rcp_f32_e32 v6, v6                                       // 0000000075B8: 7E0C4506
	v_rcp_f32_e32 v7, v7                                       // 0000000075BC: 7E0E4507
	v_mul_f32_e32 v68, v68, v4                                 // 0000000075C0: 0A880944
	v_mul_f32_e32 v69, v69, v5                                 // 0000000075C4: 0A8A0B45
	v_mul_f32_e32 v70, v70, v6                                 // 0000000075C8: 0A8C0D46
	v_mul_f32_e32 v71, v71, v7                                 // 0000000075CC: 0A8E0F47
	v_mul_f32_e32 v68, v68, v132                               // 0000000075D0: 0A890944
	v_mul_f32_e32 v69, v69, v133                               // 0000000075D4: 0A8B0B45
	v_mul_f32_e32 v70, v70, v134                               // 0000000075D8: 0A8D0D46
	v_mul_f32_e32 v71, v71, v135                               // 0000000075DC: 0A8F0F47
	v_pk_mul_f32 v[4:5], v[72:73], v[72:73]                    // 0000000075E0: D3B14004 18029148
	v_pk_mul_f32 v[6:7], v[74:75], v[74:75]                    // 0000000075E8: D3B14006 1802954A
	v_pk_fma_f32 v[4:5], v[4:5], s[78:79], v[8:9]              // 0000000075F0: D3B04004 1C209D04
	v_pk_fma_f32 v[6:7], v[6:7], s[78:79], v[8:9]              // 0000000075F8: D3B04006 1C209D06
	v_pk_mul_f32 v[4:5], v[4:5], v[72:73]                      // 000000007600: D3B14004 18029104
	v_pk_mul_f32 v[6:7], v[6:7], v[74:75]                      // 000000007608: D3B14006 18029506
	v_pk_mul_f32 v[4:5], v[4:5], s[60:61]                      // 000000007610: D3B14004 18007904
	v_pk_mul_f32 v[6:7], v[6:7], s[60:61]                      // 000000007618: D3B14006 18007906
	v_exp_f32_e32 v4, v4                                       // 000000007620: 7E084104
	v_exp_f32_e32 v5, v5                                       // 000000007624: 7E0A4105
	v_exp_f32_e32 v6, v6                                       // 000000007628: 7E0C4106
	v_exp_f32_e32 v7, v7                                       // 00000000762C: 7E0E4107
	v_add_f32_e64 v4, v4, 1.0                                  // 000000007630: D1010004 0001E504
	v_add_f32_e64 v5, v5, 1.0                                  // 000000007638: D1010005 0001E505
	v_add_f32_e64 v6, v6, 1.0                                  // 000000007640: D1010006 0001E506
	v_add_f32_e64 v7, v7, 1.0                                  // 000000007648: D1010007 0001E507
	v_rcp_f32_e32 v4, v4                                       // 000000007650: 7E084504
	v_rcp_f32_e32 v5, v5                                       // 000000007654: 7E0A4505
	v_rcp_f32_e32 v6, v6                                       // 000000007658: 7E0C4506
	v_rcp_f32_e32 v7, v7                                       // 00000000765C: 7E0E4507
	v_mul_f32_e32 v72, v72, v4                                 // 000000007660: 0A900948
	v_mul_f32_e32 v73, v73, v5                                 // 000000007664: 0A920B49
	v_mul_f32_e32 v74, v74, v6                                 // 000000007668: 0A940D4A
	v_mul_f32_e32 v75, v75, v7                                 // 00000000766C: 0A960F4B
	v_mul_f32_e32 v72, v72, v136                               // 000000007670: 0A911148
	v_mul_f32_e32 v73, v73, v137                               // 000000007674: 0A931349
	v_mul_f32_e32 v74, v74, v138                               // 000000007678: 0A95154A
	v_mul_f32_e32 v75, v75, v139                               // 00000000767C: 0A97174B
	v_pk_mul_f32 v[4:5], v[76:77], v[76:77]                    // 000000007680: D3B14004 1802994C
	v_pk_mul_f32 v[6:7], v[78:79], v[78:79]                    // 000000007688: D3B14006 18029D4E
	v_pk_fma_f32 v[4:5], v[4:5], s[78:79], v[8:9]              // 000000007690: D3B04004 1C209D04
	v_pk_fma_f32 v[6:7], v[6:7], s[78:79], v[8:9]              // 000000007698: D3B04006 1C209D06
	v_pk_mul_f32 v[4:5], v[4:5], v[76:77]                      // 0000000076A0: D3B14004 18029904
	v_pk_mul_f32 v[6:7], v[6:7], v[78:79]                      // 0000000076A8: D3B14006 18029D06
	v_pk_mul_f32 v[4:5], v[4:5], s[60:61]                      // 0000000076B0: D3B14004 18007904
	v_pk_mul_f32 v[6:7], v[6:7], s[60:61]                      // 0000000076B8: D3B14006 18007906
	v_exp_f32_e32 v4, v4                                       // 0000000076C0: 7E084104
	v_exp_f32_e32 v5, v5                                       // 0000000076C4: 7E0A4105
	v_exp_f32_e32 v6, v6                                       // 0000000076C8: 7E0C4106
	v_exp_f32_e32 v7, v7                                       // 0000000076CC: 7E0E4107
	v_add_f32_e64 v4, v4, 1.0                                  // 0000000076D0: D1010004 0001E504
	v_add_f32_e64 v5, v5, 1.0                                  // 0000000076D8: D1010005 0001E505
	v_add_f32_e64 v6, v6, 1.0                                  // 0000000076E0: D1010006 0001E506
	v_add_f32_e64 v7, v7, 1.0                                  // 0000000076E8: D1010007 0001E507
	v_rcp_f32_e32 v4, v4                                       // 0000000076F0: 7E084504
	v_rcp_f32_e32 v5, v5                                       // 0000000076F4: 7E0A4505
	v_rcp_f32_e32 v6, v6                                       // 0000000076F8: 7E0C4506
	v_rcp_f32_e32 v7, v7                                       // 0000000076FC: 7E0E4507
	v_mul_f32_e32 v76, v76, v4                                 // 000000007700: 0A98094C
	v_mul_f32_e32 v77, v77, v5                                 // 000000007704: 0A9A0B4D
	v_mul_f32_e32 v78, v78, v6                                 // 000000007708: 0A9C0D4E
	v_mul_f32_e32 v79, v79, v7                                 // 00000000770C: 0A9E0F4F
	v_mul_f32_e32 v76, v76, v140                               // 000000007710: 0A99194C
	v_mul_f32_e32 v77, v77, v141                               // 000000007714: 0A9B1B4D
	v_mul_f32_e32 v78, v78, v142                               // 000000007718: 0A9D1D4E
	v_mul_f32_e32 v79, v79, v143                               // 00000000771C: 0A9F1F4F
	v_pk_mul_f32 v[4:5], v[80:81], v[80:81]                    // 000000007720: D3B14004 1802A150
	v_pk_mul_f32 v[6:7], v[82:83], v[82:83]                    // 000000007728: D3B14006 1802A552
	v_pk_fma_f32 v[4:5], v[4:5], s[78:79], v[8:9]              // 000000007730: D3B04004 1C209D04
	v_pk_fma_f32 v[6:7], v[6:7], s[78:79], v[8:9]              // 000000007738: D3B04006 1C209D06
	v_pk_mul_f32 v[4:5], v[4:5], v[80:81]                      // 000000007740: D3B14004 1802A104
	v_pk_mul_f32 v[6:7], v[6:7], v[82:83]                      // 000000007748: D3B14006 1802A506
	v_pk_mul_f32 v[4:5], v[4:5], s[60:61]                      // 000000007750: D3B14004 18007904
	v_pk_mul_f32 v[6:7], v[6:7], s[60:61]                      // 000000007758: D3B14006 18007906
	v_exp_f32_e32 v4, v4                                       // 000000007760: 7E084104
	v_exp_f32_e32 v5, v5                                       // 000000007764: 7E0A4105
	v_exp_f32_e32 v6, v6                                       // 000000007768: 7E0C4106
	v_exp_f32_e32 v7, v7                                       // 00000000776C: 7E0E4107
	v_add_f32_e64 v4, v4, 1.0                                  // 000000007770: D1010004 0001E504
	v_add_f32_e64 v5, v5, 1.0                                  // 000000007778: D1010005 0001E505
	v_add_f32_e64 v6, v6, 1.0                                  // 000000007780: D1010006 0001E506
	v_add_f32_e64 v7, v7, 1.0                                  // 000000007788: D1010007 0001E507
	v_rcp_f32_e32 v4, v4                                       // 000000007790: 7E084504
	v_rcp_f32_e32 v5, v5                                       // 000000007794: 7E0A4505
	v_rcp_f32_e32 v6, v6                                       // 000000007798: 7E0C4506
	v_rcp_f32_e32 v7, v7                                       // 00000000779C: 7E0E4507
	v_mul_f32_e32 v80, v80, v4                                 // 0000000077A0: 0AA00950
	v_mul_f32_e32 v81, v81, v5                                 // 0000000077A4: 0AA20B51
	v_mul_f32_e32 v82, v82, v6                                 // 0000000077A8: 0AA40D52
	v_mul_f32_e32 v83, v83, v7                                 // 0000000077AC: 0AA60F53
	v_mul_f32_e32 v80, v80, v144                               // 0000000077B0: 0AA12150
	v_mul_f32_e32 v81, v81, v145                               // 0000000077B4: 0AA32351
	v_mul_f32_e32 v82, v82, v146                               // 0000000077B8: 0AA52552
	v_mul_f32_e32 v83, v83, v147                               // 0000000077BC: 0AA72753
	v_pk_mul_f32 v[4:5], v[84:85], v[84:85]                    // 0000000077C0: D3B14004 1802A954
	v_pk_mul_f32 v[6:7], v[86:87], v[86:87]                    // 0000000077C8: D3B14006 1802AD56
	v_pk_fma_f32 v[4:5], v[4:5], s[78:79], v[8:9]              // 0000000077D0: D3B04004 1C209D04
	v_pk_fma_f32 v[6:7], v[6:7], s[78:79], v[8:9]              // 0000000077D8: D3B04006 1C209D06
	v_pk_mul_f32 v[4:5], v[4:5], v[84:85]                      // 0000000077E0: D3B14004 1802A904
	v_pk_mul_f32 v[6:7], v[6:7], v[86:87]                      // 0000000077E8: D3B14006 1802AD06
	v_pk_mul_f32 v[4:5], v[4:5], s[60:61]                      // 0000000077F0: D3B14004 18007904
	v_pk_mul_f32 v[6:7], v[6:7], s[60:61]                      // 0000000077F8: D3B14006 18007906
	v_exp_f32_e32 v4, v4                                       // 000000007800: 7E084104
	v_exp_f32_e32 v5, v5                                       // 000000007804: 7E0A4105
	v_exp_f32_e32 v6, v6                                       // 000000007808: 7E0C4106
	v_exp_f32_e32 v7, v7                                       // 00000000780C: 7E0E4107
	v_add_f32_e64 v4, v4, 1.0                                  // 000000007810: D1010004 0001E504
	v_add_f32_e64 v5, v5, 1.0                                  // 000000007818: D1010005 0001E505
	v_add_f32_e64 v6, v6, 1.0                                  // 000000007820: D1010006 0001E506
	v_add_f32_e64 v7, v7, 1.0                                  // 000000007828: D1010007 0001E507
	v_rcp_f32_e32 v4, v4                                       // 000000007830: 7E084504
	v_rcp_f32_e32 v5, v5                                       // 000000007834: 7E0A4505
	v_rcp_f32_e32 v6, v6                                       // 000000007838: 7E0C4506
	v_rcp_f32_e32 v7, v7                                       // 00000000783C: 7E0E4507
	v_mul_f32_e32 v84, v84, v4                                 // 000000007840: 0AA80954
	v_mul_f32_e32 v85, v85, v5                                 // 000000007844: 0AAA0B55
	v_mul_f32_e32 v86, v86, v6                                 // 000000007848: 0AAC0D56
	v_mul_f32_e32 v87, v87, v7                                 // 00000000784C: 0AAE0F57
	v_mul_f32_e32 v84, v84, v148                               // 000000007850: 0AA92954
	v_mul_f32_e32 v85, v85, v149                               // 000000007854: 0AAB2B55
	v_mul_f32_e32 v86, v86, v150                               // 000000007858: 0AAD2D56
	v_mul_f32_e32 v87, v87, v151                               // 00000000785C: 0AAF2F57
	v_pk_mul_f32 v[4:5], v[88:89], v[88:89]                    // 000000007860: D3B14004 1802B158
	v_pk_mul_f32 v[6:7], v[90:91], v[90:91]                    // 000000007868: D3B14006 1802B55A
	v_pk_fma_f32 v[4:5], v[4:5], s[78:79], v[8:9]              // 000000007870: D3B04004 1C209D04
	v_pk_fma_f32 v[6:7], v[6:7], s[78:79], v[8:9]              // 000000007878: D3B04006 1C209D06
	v_pk_mul_f32 v[4:5], v[4:5], v[88:89]                      // 000000007880: D3B14004 1802B104
	v_pk_mul_f32 v[6:7], v[6:7], v[90:91]                      // 000000007888: D3B14006 1802B506
	v_pk_mul_f32 v[4:5], v[4:5], s[60:61]                      // 000000007890: D3B14004 18007904
	v_pk_mul_f32 v[6:7], v[6:7], s[60:61]                      // 000000007898: D3B14006 18007906
	v_exp_f32_e32 v4, v4                                       // 0000000078A0: 7E084104
	v_exp_f32_e32 v5, v5                                       // 0000000078A4: 7E0A4105
	v_exp_f32_e32 v6, v6                                       // 0000000078A8: 7E0C4106
	v_exp_f32_e32 v7, v7                                       // 0000000078AC: 7E0E4107
	v_add_f32_e64 v4, v4, 1.0                                  // 0000000078B0: D1010004 0001E504
	v_add_f32_e64 v5, v5, 1.0                                  // 0000000078B8: D1010005 0001E505
	v_add_f32_e64 v6, v6, 1.0                                  // 0000000078C0: D1010006 0001E506
	v_add_f32_e64 v7, v7, 1.0                                  // 0000000078C8: D1010007 0001E507
	v_rcp_f32_e32 v4, v4                                       // 0000000078D0: 7E084504
	v_rcp_f32_e32 v5, v5                                       // 0000000078D4: 7E0A4505
	v_rcp_f32_e32 v6, v6                                       // 0000000078D8: 7E0C4506
	v_rcp_f32_e32 v7, v7                                       // 0000000078DC: 7E0E4507
	v_mul_f32_e32 v88, v88, v4                                 // 0000000078E0: 0AB00958
	v_mul_f32_e32 v89, v89, v5                                 // 0000000078E4: 0AB20B59
	v_mul_f32_e32 v90, v90, v6                                 // 0000000078E8: 0AB40D5A
	v_mul_f32_e32 v91, v91, v7                                 // 0000000078EC: 0AB60F5B
	v_mul_f32_e32 v88, v88, v152                               // 0000000078F0: 0AB13158
	v_mul_f32_e32 v89, v89, v153                               // 0000000078F4: 0AB33359
	v_mul_f32_e32 v90, v90, v154                               // 0000000078F8: 0AB5355A
	v_mul_f32_e32 v91, v91, v155                               // 0000000078FC: 0AB7375B
	v_pk_mul_f32 v[4:5], v[92:93], v[92:93]                    // 000000007900: D3B14004 1802B95C
	v_pk_mul_f32 v[6:7], v[94:95], v[94:95]                    // 000000007908: D3B14006 1802BD5E
	v_pk_fma_f32 v[4:5], v[4:5], s[78:79], v[8:9]              // 000000007910: D3B04004 1C209D04
	v_pk_fma_f32 v[6:7], v[6:7], s[78:79], v[8:9]              // 000000007918: D3B04006 1C209D06
	v_pk_mul_f32 v[4:5], v[4:5], v[92:93]                      // 000000007920: D3B14004 1802B904
	v_pk_mul_f32 v[6:7], v[6:7], v[94:95]                      // 000000007928: D3B14006 1802BD06
	v_pk_mul_f32 v[4:5], v[4:5], s[60:61]                      // 000000007930: D3B14004 18007904
	v_pk_mul_f32 v[6:7], v[6:7], s[60:61]                      // 000000007938: D3B14006 18007906
	v_exp_f32_e32 v4, v4                                       // 000000007940: 7E084104
	v_exp_f32_e32 v5, v5                                       // 000000007944: 7E0A4105
	v_exp_f32_e32 v6, v6                                       // 000000007948: 7E0C4106
	v_exp_f32_e32 v7, v7                                       // 00000000794C: 7E0E4107
	v_add_f32_e64 v4, v4, 1.0                                  // 000000007950: D1010004 0001E504
	v_add_f32_e64 v5, v5, 1.0                                  // 000000007958: D1010005 0001E505
	v_add_f32_e64 v6, v6, 1.0                                  // 000000007960: D1010006 0001E506
	v_add_f32_e64 v7, v7, 1.0                                  // 000000007968: D1010007 0001E507
	v_rcp_f32_e32 v4, v4                                       // 000000007970: 7E084504
	v_rcp_f32_e32 v5, v5                                       // 000000007974: 7E0A4505
	v_rcp_f32_e32 v6, v6                                       // 000000007978: 7E0C4506
	v_rcp_f32_e32 v7, v7                                       // 00000000797C: 7E0E4507
	v_mul_f32_e32 v92, v92, v4                                 // 000000007980: 0AB8095C
	v_mul_f32_e32 v93, v93, v5                                 // 000000007984: 0ABA0B5D
	v_mul_f32_e32 v94, v94, v6                                 // 000000007988: 0ABC0D5E
	v_mul_f32_e32 v95, v95, v7                                 // 00000000798C: 0ABE0F5F
	v_mul_f32_e32 v92, v92, v156                               // 000000007990: 0AB9395C
	v_mul_f32_e32 v93, v93, v157                               // 000000007994: 0ABB3B5D
	v_mul_f32_e32 v94, v94, v158                               // 000000007998: 0ABD3D5E
	v_mul_f32_e32 v95, v95, v159                               // 00000000799C: 0ABF3F5F
	v_pk_mul_f32 v[4:5], v[96:97], v[96:97]                    // 0000000079A0: D3B14004 1802C160
	v_pk_mul_f32 v[6:7], v[98:99], v[98:99]                    // 0000000079A8: D3B14006 1802C562
	v_pk_fma_f32 v[4:5], v[4:5], s[78:79], v[8:9]              // 0000000079B0: D3B04004 1C209D04
	v_pk_fma_f32 v[6:7], v[6:7], s[78:79], v[8:9]              // 0000000079B8: D3B04006 1C209D06
	v_pk_mul_f32 v[4:5], v[4:5], v[96:97]                      // 0000000079C0: D3B14004 1802C104
	v_pk_mul_f32 v[6:7], v[6:7], v[98:99]                      // 0000000079C8: D3B14006 1802C506
	v_pk_mul_f32 v[4:5], v[4:5], s[60:61]                      // 0000000079D0: D3B14004 18007904
	v_pk_mul_f32 v[6:7], v[6:7], s[60:61]                      // 0000000079D8: D3B14006 18007906
	v_exp_f32_e32 v4, v4                                       // 0000000079E0: 7E084104
	v_exp_f32_e32 v5, v5                                       // 0000000079E4: 7E0A4105
	v_exp_f32_e32 v6, v6                                       // 0000000079E8: 7E0C4106
	v_exp_f32_e32 v7, v7                                       // 0000000079EC: 7E0E4107
	v_add_f32_e64 v4, v4, 1.0                                  // 0000000079F0: D1010004 0001E504
	v_add_f32_e64 v5, v5, 1.0                                  // 0000000079F8: D1010005 0001E505
	v_add_f32_e64 v6, v6, 1.0                                  // 000000007A00: D1010006 0001E506
	v_add_f32_e64 v7, v7, 1.0                                  // 000000007A08: D1010007 0001E507
	v_rcp_f32_e32 v4, v4                                       // 000000007A10: 7E084504
	v_rcp_f32_e32 v5, v5                                       // 000000007A14: 7E0A4505
	v_rcp_f32_e32 v6, v6                                       // 000000007A18: 7E0C4506
	v_rcp_f32_e32 v7, v7                                       // 000000007A1C: 7E0E4507
	v_mul_f32_e32 v96, v96, v4                                 // 000000007A20: 0AC00960
	v_mul_f32_e32 v97, v97, v5                                 // 000000007A24: 0AC20B61
	v_mul_f32_e32 v98, v98, v6                                 // 000000007A28: 0AC40D62
	v_mul_f32_e32 v99, v99, v7                                 // 000000007A2C: 0AC60F63
	v_mul_f32_e32 v96, v96, v160                               // 000000007A30: 0AC14160
	v_mul_f32_e32 v97, v97, v161                               // 000000007A34: 0AC34361
	v_mul_f32_e32 v98, v98, v162                               // 000000007A38: 0AC54562
	v_mul_f32_e32 v99, v99, v163                               // 000000007A3C: 0AC74763
	v_pk_mul_f32 v[4:5], v[100:101], v[100:101]                // 000000007A40: D3B14004 1802C964
	v_pk_mul_f32 v[6:7], v[102:103], v[102:103]                // 000000007A48: D3B14006 1802CD66
	v_pk_fma_f32 v[4:5], v[4:5], s[78:79], v[8:9]              // 000000007A50: D3B04004 1C209D04
	v_pk_fma_f32 v[6:7], v[6:7], s[78:79], v[8:9]              // 000000007A58: D3B04006 1C209D06
	v_pk_mul_f32 v[4:5], v[4:5], v[100:101]                    // 000000007A60: D3B14004 1802C904
	v_pk_mul_f32 v[6:7], v[6:7], v[102:103]                    // 000000007A68: D3B14006 1802CD06
	v_pk_mul_f32 v[4:5], v[4:5], s[60:61]                      // 000000007A70: D3B14004 18007904
	v_pk_mul_f32 v[6:7], v[6:7], s[60:61]                      // 000000007A78: D3B14006 18007906
	v_exp_f32_e32 v4, v4                                       // 000000007A80: 7E084104
	v_exp_f32_e32 v5, v5                                       // 000000007A84: 7E0A4105
	v_exp_f32_e32 v6, v6                                       // 000000007A88: 7E0C4106
	v_exp_f32_e32 v7, v7                                       // 000000007A8C: 7E0E4107
	v_add_f32_e64 v4, v4, 1.0                                  // 000000007A90: D1010004 0001E504
	v_add_f32_e64 v5, v5, 1.0                                  // 000000007A98: D1010005 0001E505
	v_add_f32_e64 v6, v6, 1.0                                  // 000000007AA0: D1010006 0001E506
	v_add_f32_e64 v7, v7, 1.0                                  // 000000007AA8: D1010007 0001E507
	v_rcp_f32_e32 v4, v4                                       // 000000007AB0: 7E084504
	v_rcp_f32_e32 v5, v5                                       // 000000007AB4: 7E0A4505
	v_rcp_f32_e32 v6, v6                                       // 000000007AB8: 7E0C4506
	v_rcp_f32_e32 v7, v7                                       // 000000007ABC: 7E0E4507
	v_mul_f32_e32 v100, v100, v4                               // 000000007AC0: 0AC80964
	v_mul_f32_e32 v101, v101, v5                               // 000000007AC4: 0ACA0B65
	v_mul_f32_e32 v102, v102, v6                               // 000000007AC8: 0ACC0D66
	v_mul_f32_e32 v103, v103, v7                               // 000000007ACC: 0ACE0F67
	v_mul_f32_e32 v100, v100, v164                             // 000000007AD0: 0AC94964
	v_mul_f32_e32 v101, v101, v165                             // 000000007AD4: 0ACB4B65
	v_mul_f32_e32 v102, v102, v166                             // 000000007AD8: 0ACD4D66
	v_mul_f32_e32 v103, v103, v167                             // 000000007ADC: 0ACF4F67
	v_pk_mul_f32 v[4:5], v[104:105], v[104:105]                // 000000007AE0: D3B14004 1802D168
	v_pk_mul_f32 v[6:7], v[106:107], v[106:107]                // 000000007AE8: D3B14006 1802D56A
	v_pk_fma_f32 v[4:5], v[4:5], s[78:79], v[8:9]              // 000000007AF0: D3B04004 1C209D04
	v_pk_fma_f32 v[6:7], v[6:7], s[78:79], v[8:9]              // 000000007AF8: D3B04006 1C209D06
	v_pk_mul_f32 v[4:5], v[4:5], v[104:105]                    // 000000007B00: D3B14004 1802D104
	v_pk_mul_f32 v[6:7], v[6:7], v[106:107]                    // 000000007B08: D3B14006 1802D506
	v_pk_mul_f32 v[4:5], v[4:5], s[60:61]                      // 000000007B10: D3B14004 18007904
	v_pk_mul_f32 v[6:7], v[6:7], s[60:61]                      // 000000007B18: D3B14006 18007906
	v_exp_f32_e32 v4, v4                                       // 000000007B20: 7E084104
	v_exp_f32_e32 v5, v5                                       // 000000007B24: 7E0A4105
	v_exp_f32_e32 v6, v6                                       // 000000007B28: 7E0C4106
	v_exp_f32_e32 v7, v7                                       // 000000007B2C: 7E0E4107
	v_add_f32_e64 v4, v4, 1.0                                  // 000000007B30: D1010004 0001E504
	v_add_f32_e64 v5, v5, 1.0                                  // 000000007B38: D1010005 0001E505
	v_add_f32_e64 v6, v6, 1.0                                  // 000000007B40: D1010006 0001E506
	v_add_f32_e64 v7, v7, 1.0                                  // 000000007B48: D1010007 0001E507
	v_rcp_f32_e32 v4, v4                                       // 000000007B50: 7E084504
	v_rcp_f32_e32 v5, v5                                       // 000000007B54: 7E0A4505
	v_rcp_f32_e32 v6, v6                                       // 000000007B58: 7E0C4506
	v_rcp_f32_e32 v7, v7                                       // 000000007B5C: 7E0E4507
	v_mul_f32_e32 v104, v104, v4                               // 000000007B60: 0AD00968
	v_mul_f32_e32 v105, v105, v5                               // 000000007B64: 0AD20B69
	v_mul_f32_e32 v106, v106, v6                               // 000000007B68: 0AD40D6A
	v_mul_f32_e32 v107, v107, v7                               // 000000007B6C: 0AD60F6B
	v_mul_f32_e32 v104, v104, v168                             // 000000007B70: 0AD15168
	v_mul_f32_e32 v105, v105, v169                             // 000000007B74: 0AD35369
	v_mul_f32_e32 v106, v106, v170                             // 000000007B78: 0AD5556A
	v_mul_f32_e32 v107, v107, v171                             // 000000007B7C: 0AD7576B
	v_pk_mul_f32 v[4:5], v[108:109], v[108:109]                // 000000007B80: D3B14004 1802D96C
	v_pk_mul_f32 v[6:7], v[110:111], v[110:111]                // 000000007B88: D3B14006 1802DD6E
	v_pk_fma_f32 v[4:5], v[4:5], s[78:79], v[8:9]              // 000000007B90: D3B04004 1C209D04
	v_pk_fma_f32 v[6:7], v[6:7], s[78:79], v[8:9]              // 000000007B98: D3B04006 1C209D06
	v_pk_mul_f32 v[4:5], v[4:5], v[108:109]                    // 000000007BA0: D3B14004 1802D904
	v_pk_mul_f32 v[6:7], v[6:7], v[110:111]                    // 000000007BA8: D3B14006 1802DD06
	v_pk_mul_f32 v[4:5], v[4:5], s[60:61]                      // 000000007BB0: D3B14004 18007904
	v_pk_mul_f32 v[6:7], v[6:7], s[60:61]                      // 000000007BB8: D3B14006 18007906
	v_exp_f32_e32 v4, v4                                       // 000000007BC0: 7E084104
	v_exp_f32_e32 v5, v5                                       // 000000007BC4: 7E0A4105
	v_exp_f32_e32 v6, v6                                       // 000000007BC8: 7E0C4106
	v_exp_f32_e32 v7, v7                                       // 000000007BCC: 7E0E4107
	v_add_f32_e64 v4, v4, 1.0                                  // 000000007BD0: D1010004 0001E504
	v_add_f32_e64 v5, v5, 1.0                                  // 000000007BD8: D1010005 0001E505
	v_add_f32_e64 v6, v6, 1.0                                  // 000000007BE0: D1010006 0001E506
	v_add_f32_e64 v7, v7, 1.0                                  // 000000007BE8: D1010007 0001E507
	v_rcp_f32_e32 v4, v4                                       // 000000007BF0: 7E084504
	v_rcp_f32_e32 v5, v5                                       // 000000007BF4: 7E0A4505
	v_rcp_f32_e32 v6, v6                                       // 000000007BF8: 7E0C4506
	v_rcp_f32_e32 v7, v7                                       // 000000007BFC: 7E0E4507
	v_mul_f32_e32 v108, v108, v4                               // 000000007C00: 0AD8096C
	v_mul_f32_e32 v109, v109, v5                               // 000000007C04: 0ADA0B6D
	v_mul_f32_e32 v110, v110, v6                               // 000000007C08: 0ADC0D6E
	v_mul_f32_e32 v111, v111, v7                               // 000000007C0C: 0ADE0F6F
	v_mul_f32_e32 v108, v108, v172                             // 000000007C10: 0AD9596C
	v_mul_f32_e32 v109, v109, v173                             // 000000007C14: 0ADB5B6D
	v_mul_f32_e32 v110, v110, v174                             // 000000007C18: 0ADD5D6E
	v_mul_f32_e32 v111, v111, v175                             // 000000007C1C: 0ADF5F6F
	v_pk_mul_f32 v[4:5], v[112:113], v[112:113]                // 000000007C20: D3B14004 1802E170
	v_pk_mul_f32 v[6:7], v[114:115], v[114:115]                // 000000007C28: D3B14006 1802E572
	v_pk_fma_f32 v[4:5], v[4:5], s[78:79], v[8:9]              // 000000007C30: D3B04004 1C209D04
	v_pk_fma_f32 v[6:7], v[6:7], s[78:79], v[8:9]              // 000000007C38: D3B04006 1C209D06
	v_pk_mul_f32 v[4:5], v[4:5], v[112:113]                    // 000000007C40: D3B14004 1802E104
	v_pk_mul_f32 v[6:7], v[6:7], v[114:115]                    // 000000007C48: D3B14006 1802E506
	v_pk_mul_f32 v[4:5], v[4:5], s[60:61]                      // 000000007C50: D3B14004 18007904
	v_pk_mul_f32 v[6:7], v[6:7], s[60:61]                      // 000000007C58: D3B14006 18007906
	v_exp_f32_e32 v4, v4                                       // 000000007C60: 7E084104
	v_exp_f32_e32 v5, v5                                       // 000000007C64: 7E0A4105
	v_exp_f32_e32 v6, v6                                       // 000000007C68: 7E0C4106
	v_exp_f32_e32 v7, v7                                       // 000000007C6C: 7E0E4107
	v_add_f32_e64 v4, v4, 1.0                                  // 000000007C70: D1010004 0001E504
	v_add_f32_e64 v5, v5, 1.0                                  // 000000007C78: D1010005 0001E505
	v_add_f32_e64 v6, v6, 1.0                                  // 000000007C80: D1010006 0001E506
	v_add_f32_e64 v7, v7, 1.0                                  // 000000007C88: D1010007 0001E507
	v_rcp_f32_e32 v4, v4                                       // 000000007C90: 7E084504
	v_rcp_f32_e32 v5, v5                                       // 000000007C94: 7E0A4505
	v_rcp_f32_e32 v6, v6                                       // 000000007C98: 7E0C4506
	v_rcp_f32_e32 v7, v7                                       // 000000007C9C: 7E0E4507
	v_mul_f32_e32 v112, v112, v4                               // 000000007CA0: 0AE00970
	v_mul_f32_e32 v113, v113, v5                               // 000000007CA4: 0AE20B71
	v_mul_f32_e32 v114, v114, v6                               // 000000007CA8: 0AE40D72
	v_mul_f32_e32 v115, v115, v7                               // 000000007CAC: 0AE60F73
	v_mul_f32_e32 v112, v112, v176                             // 000000007CB0: 0AE16170
	v_mul_f32_e32 v113, v113, v177                             // 000000007CB4: 0AE36371
	v_mul_f32_e32 v114, v114, v178                             // 000000007CB8: 0AE56572
	v_mul_f32_e32 v115, v115, v179                             // 000000007CBC: 0AE76773
	s_branch label_16B1                                        // 000000007CC0: BF820200

0000000000007cc4 <label_14B1>:
	v_mul_f32_e64 v4, -v52, s6                                 // 000000007CC4: D1050004 20000D34
	v_mul_f32_e64 v5, -v53, s6                                 // 000000007CCC: D1050005 20000D35
	v_mul_f32_e64 v6, -v54, s6                                 // 000000007CD4: D1050006 20000D36
	v_mul_f32_e64 v7, -v55, s6                                 // 000000007CDC: D1050007 20000D37
	v_exp_f32_e32 v4, v4                                       // 000000007CE4: 7E084104
	v_exp_f32_e32 v5, v5                                       // 000000007CE8: 7E0A4105
	v_exp_f32_e32 v6, v6                                       // 000000007CEC: 7E0C4106
	v_exp_f32_e32 v7, v7                                       // 000000007CF0: 7E0E4107
	v_add_f32_e64 v4, v4, 1.0                                  // 000000007CF4: D1010004 0001E504
	v_add_f32_e64 v5, v5, 1.0                                  // 000000007CFC: D1010005 0001E505
	v_add_f32_e64 v6, v6, 1.0                                  // 000000007D04: D1010006 0001E506
	v_add_f32_e64 v7, v7, 1.0                                  // 000000007D0C: D1010007 0001E507
	v_rcp_f32_e32 v4, v4                                       // 000000007D14: 7E084504
	v_rcp_f32_e32 v5, v5                                       // 000000007D18: 7E0A4505
	v_rcp_f32_e32 v6, v6                                       // 000000007D1C: 7E0C4506
	v_rcp_f32_e32 v7, v7                                       // 000000007D20: 7E0E4507
	v_mul_f32_e32 v52, v52, v4                                 // 000000007D24: 0A680934
	v_mul_f32_e32 v53, v53, v5                                 // 000000007D28: 0A6A0B35
	v_mul_f32_e32 v54, v54, v6                                 // 000000007D2C: 0A6C0D36
	v_mul_f32_e32 v55, v55, v7                                 // 000000007D30: 0A6E0F37
	v_mul_f32_e32 v52, v52, v116                               // 000000007D34: 0A68E934
	v_mul_f32_e32 v53, v53, v117                               // 000000007D38: 0A6AEB35
	v_mul_f32_e32 v54, v54, v118                               // 000000007D3C: 0A6CED36
	v_mul_f32_e32 v55, v55, v119                               // 000000007D40: 0A6EEF37
	v_mul_f32_e64 v4, -v56, s6                                 // 000000007D44: D1050004 20000D38
	v_mul_f32_e64 v5, -v57, s6                                 // 000000007D4C: D1050005 20000D39
	v_mul_f32_e64 v6, -v58, s6                                 // 000000007D54: D1050006 20000D3A
	v_mul_f32_e64 v7, -v59, s6                                 // 000000007D5C: D1050007 20000D3B
	v_exp_f32_e32 v4, v4                                       // 000000007D64: 7E084104
	v_exp_f32_e32 v5, v5                                       // 000000007D68: 7E0A4105
	v_exp_f32_e32 v6, v6                                       // 000000007D6C: 7E0C4106
	v_exp_f32_e32 v7, v7                                       // 000000007D70: 7E0E4107
	v_add_f32_e64 v4, v4, 1.0                                  // 000000007D74: D1010004 0001E504
	v_add_f32_e64 v5, v5, 1.0                                  // 000000007D7C: D1010005 0001E505
	v_add_f32_e64 v6, v6, 1.0                                  // 000000007D84: D1010006 0001E506
	v_add_f32_e64 v7, v7, 1.0                                  // 000000007D8C: D1010007 0001E507
	v_rcp_f32_e32 v4, v4                                       // 000000007D94: 7E084504
	v_rcp_f32_e32 v5, v5                                       // 000000007D98: 7E0A4505
	v_rcp_f32_e32 v6, v6                                       // 000000007D9C: 7E0C4506
	v_rcp_f32_e32 v7, v7                                       // 000000007DA0: 7E0E4507
	v_mul_f32_e32 v56, v56, v4                                 // 000000007DA4: 0A700938
	v_mul_f32_e32 v57, v57, v5                                 // 000000007DA8: 0A720B39
	v_mul_f32_e32 v58, v58, v6                                 // 000000007DAC: 0A740D3A
	v_mul_f32_e32 v59, v59, v7                                 // 000000007DB0: 0A760F3B
	v_mul_f32_e32 v56, v56, v120                               // 000000007DB4: 0A70F138
	v_mul_f32_e32 v57, v57, v121                               // 000000007DB8: 0A72F339
	v_mul_f32_e32 v58, v58, v122                               // 000000007DBC: 0A74F53A
	v_mul_f32_e32 v59, v59, v123                               // 000000007DC0: 0A76F73B
	v_mul_f32_e64 v4, -v60, s6                                 // 000000007DC4: D1050004 20000D3C
	v_mul_f32_e64 v5, -v61, s6                                 // 000000007DCC: D1050005 20000D3D
	v_mul_f32_e64 v6, -v62, s6                                 // 000000007DD4: D1050006 20000D3E
	v_mul_f32_e64 v7, -v63, s6                                 // 000000007DDC: D1050007 20000D3F
	v_exp_f32_e32 v4, v4                                       // 000000007DE4: 7E084104
	v_exp_f32_e32 v5, v5                                       // 000000007DE8: 7E0A4105
	v_exp_f32_e32 v6, v6                                       // 000000007DEC: 7E0C4106
	v_exp_f32_e32 v7, v7                                       // 000000007DF0: 7E0E4107
	v_add_f32_e64 v4, v4, 1.0                                  // 000000007DF4: D1010004 0001E504
	v_add_f32_e64 v5, v5, 1.0                                  // 000000007DFC: D1010005 0001E505
	v_add_f32_e64 v6, v6, 1.0                                  // 000000007E04: D1010006 0001E506
	v_add_f32_e64 v7, v7, 1.0                                  // 000000007E0C: D1010007 0001E507
	v_rcp_f32_e32 v4, v4                                       // 000000007E14: 7E084504
	v_rcp_f32_e32 v5, v5                                       // 000000007E18: 7E0A4505
	v_rcp_f32_e32 v6, v6                                       // 000000007E1C: 7E0C4506
	v_rcp_f32_e32 v7, v7                                       // 000000007E20: 7E0E4507
	v_mul_f32_e32 v60, v60, v4                                 // 000000007E24: 0A78093C
	v_mul_f32_e32 v61, v61, v5                                 // 000000007E28: 0A7A0B3D
	v_mul_f32_e32 v62, v62, v6                                 // 000000007E2C: 0A7C0D3E
	v_mul_f32_e32 v63, v63, v7                                 // 000000007E30: 0A7E0F3F
	v_mul_f32_e32 v60, v60, v124                               // 000000007E34: 0A78F93C
	v_mul_f32_e32 v61, v61, v125                               // 000000007E38: 0A7AFB3D
	v_mul_f32_e32 v62, v62, v126                               // 000000007E3C: 0A7CFD3E
	v_mul_f32_e32 v63, v63, v127                               // 000000007E40: 0A7EFF3F
	v_mul_f32_e64 v4, -v64, s6                                 // 000000007E44: D1050004 20000D40
	v_mul_f32_e64 v5, -v65, s6                                 // 000000007E4C: D1050005 20000D41
	v_mul_f32_e64 v6, -v66, s6                                 // 000000007E54: D1050006 20000D42
	v_mul_f32_e64 v7, -v67, s6                                 // 000000007E5C: D1050007 20000D43
	v_exp_f32_e32 v4, v4                                       // 000000007E64: 7E084104
	v_exp_f32_e32 v5, v5                                       // 000000007E68: 7E0A4105
	v_exp_f32_e32 v6, v6                                       // 000000007E6C: 7E0C4106
	v_exp_f32_e32 v7, v7                                       // 000000007E70: 7E0E4107
	v_add_f32_e64 v4, v4, 1.0                                  // 000000007E74: D1010004 0001E504
	v_add_f32_e64 v5, v5, 1.0                                  // 000000007E7C: D1010005 0001E505
	v_add_f32_e64 v6, v6, 1.0                                  // 000000007E84: D1010006 0001E506
	v_add_f32_e64 v7, v7, 1.0                                  // 000000007E8C: D1010007 0001E507
	v_rcp_f32_e32 v4, v4                                       // 000000007E94: 7E084504
	v_rcp_f32_e32 v5, v5                                       // 000000007E98: 7E0A4505
	v_rcp_f32_e32 v6, v6                                       // 000000007E9C: 7E0C4506
	v_rcp_f32_e32 v7, v7                                       // 000000007EA0: 7E0E4507
	v_mul_f32_e32 v64, v64, v4                                 // 000000007EA4: 0A800940
	v_mul_f32_e32 v65, v65, v5                                 // 000000007EA8: 0A820B41
	v_mul_f32_e32 v66, v66, v6                                 // 000000007EAC: 0A840D42
	v_mul_f32_e32 v67, v67, v7                                 // 000000007EB0: 0A860F43
	v_mul_f32_e32 v64, v64, v128                               // 000000007EB4: 0A810140
	v_mul_f32_e32 v65, v65, v129                               // 000000007EB8: 0A830341
	v_mul_f32_e32 v66, v66, v130                               // 000000007EBC: 0A850542
	v_mul_f32_e32 v67, v67, v131                               // 000000007EC0: 0A870743
	v_mul_f32_e64 v4, -v68, s6                                 // 000000007EC4: D1050004 20000D44
	v_mul_f32_e64 v5, -v69, s6                                 // 000000007ECC: D1050005 20000D45
	v_mul_f32_e64 v6, -v70, s6                                 // 000000007ED4: D1050006 20000D46
	v_mul_f32_e64 v7, -v71, s6                                 // 000000007EDC: D1050007 20000D47
	v_exp_f32_e32 v4, v4                                       // 000000007EE4: 7E084104
	v_exp_f32_e32 v5, v5                                       // 000000007EE8: 7E0A4105
	v_exp_f32_e32 v6, v6                                       // 000000007EEC: 7E0C4106
	v_exp_f32_e32 v7, v7                                       // 000000007EF0: 7E0E4107
	v_add_f32_e64 v4, v4, 1.0                                  // 000000007EF4: D1010004 0001E504
	v_add_f32_e64 v5, v5, 1.0                                  // 000000007EFC: D1010005 0001E505
	v_add_f32_e64 v6, v6, 1.0                                  // 000000007F04: D1010006 0001E506
	v_add_f32_e64 v7, v7, 1.0                                  // 000000007F0C: D1010007 0001E507
	v_rcp_f32_e32 v4, v4                                       // 000000007F14: 7E084504
	v_rcp_f32_e32 v5, v5                                       // 000000007F18: 7E0A4505
	v_rcp_f32_e32 v6, v6                                       // 000000007F1C: 7E0C4506
	v_rcp_f32_e32 v7, v7                                       // 000000007F20: 7E0E4507
	v_mul_f32_e32 v68, v68, v4                                 // 000000007F24: 0A880944
	v_mul_f32_e32 v69, v69, v5                                 // 000000007F28: 0A8A0B45
	v_mul_f32_e32 v70, v70, v6                                 // 000000007F2C: 0A8C0D46
	v_mul_f32_e32 v71, v71, v7                                 // 000000007F30: 0A8E0F47
	v_mul_f32_e32 v68, v68, v132                               // 000000007F34: 0A890944
	v_mul_f32_e32 v69, v69, v133                               // 000000007F38: 0A8B0B45
	v_mul_f32_e32 v70, v70, v134                               // 000000007F3C: 0A8D0D46
	v_mul_f32_e32 v71, v71, v135                               // 000000007F40: 0A8F0F47
	v_mul_f32_e64 v4, -v72, s6                                 // 000000007F44: D1050004 20000D48
	v_mul_f32_e64 v5, -v73, s6                                 // 000000007F4C: D1050005 20000D49
	v_mul_f32_e64 v6, -v74, s6                                 // 000000007F54: D1050006 20000D4A
	v_mul_f32_e64 v7, -v75, s6                                 // 000000007F5C: D1050007 20000D4B
	v_exp_f32_e32 v4, v4                                       // 000000007F64: 7E084104
	v_exp_f32_e32 v5, v5                                       // 000000007F68: 7E0A4105
	v_exp_f32_e32 v6, v6                                       // 000000007F6C: 7E0C4106
	v_exp_f32_e32 v7, v7                                       // 000000007F70: 7E0E4107
	v_add_f32_e64 v4, v4, 1.0                                  // 000000007F74: D1010004 0001E504
	v_add_f32_e64 v5, v5, 1.0                                  // 000000007F7C: D1010005 0001E505
	v_add_f32_e64 v6, v6, 1.0                                  // 000000007F84: D1010006 0001E506
	v_add_f32_e64 v7, v7, 1.0                                  // 000000007F8C: D1010007 0001E507
	v_rcp_f32_e32 v4, v4                                       // 000000007F94: 7E084504
	v_rcp_f32_e32 v5, v5                                       // 000000007F98: 7E0A4505
	v_rcp_f32_e32 v6, v6                                       // 000000007F9C: 7E0C4506
	v_rcp_f32_e32 v7, v7                                       // 000000007FA0: 7E0E4507
	v_mul_f32_e32 v72, v72, v4                                 // 000000007FA4: 0A900948
	v_mul_f32_e32 v73, v73, v5                                 // 000000007FA8: 0A920B49
	v_mul_f32_e32 v74, v74, v6                                 // 000000007FAC: 0A940D4A
	v_mul_f32_e32 v75, v75, v7                                 // 000000007FB0: 0A960F4B
	v_mul_f32_e32 v72, v72, v136                               // 000000007FB4: 0A911148
	v_mul_f32_e32 v73, v73, v137                               // 000000007FB8: 0A931349
	v_mul_f32_e32 v74, v74, v138                               // 000000007FBC: 0A95154A
	v_mul_f32_e32 v75, v75, v139                               // 000000007FC0: 0A97174B
	v_mul_f32_e64 v4, -v76, s6                                 // 000000007FC4: D1050004 20000D4C
	v_mul_f32_e64 v5, -v77, s6                                 // 000000007FCC: D1050005 20000D4D
	v_mul_f32_e64 v6, -v78, s6                                 // 000000007FD4: D1050006 20000D4E
	v_mul_f32_e64 v7, -v79, s6                                 // 000000007FDC: D1050007 20000D4F
	v_exp_f32_e32 v4, v4                                       // 000000007FE4: 7E084104
	v_exp_f32_e32 v5, v5                                       // 000000007FE8: 7E0A4105
	v_exp_f32_e32 v6, v6                                       // 000000007FEC: 7E0C4106
	v_exp_f32_e32 v7, v7                                       // 000000007FF0: 7E0E4107
	v_add_f32_e64 v4, v4, 1.0                                  // 000000007FF4: D1010004 0001E504
	v_add_f32_e64 v5, v5, 1.0                                  // 000000007FFC: D1010005 0001E505
	v_add_f32_e64 v6, v6, 1.0                                  // 000000008004: D1010006 0001E506
	v_add_f32_e64 v7, v7, 1.0                                  // 00000000800C: D1010007 0001E507
	v_rcp_f32_e32 v4, v4                                       // 000000008014: 7E084504
	v_rcp_f32_e32 v5, v5                                       // 000000008018: 7E0A4505
	v_rcp_f32_e32 v6, v6                                       // 00000000801C: 7E0C4506
	v_rcp_f32_e32 v7, v7                                       // 000000008020: 7E0E4507
	v_mul_f32_e32 v76, v76, v4                                 // 000000008024: 0A98094C
	v_mul_f32_e32 v77, v77, v5                                 // 000000008028: 0A9A0B4D
	v_mul_f32_e32 v78, v78, v6                                 // 00000000802C: 0A9C0D4E
	v_mul_f32_e32 v79, v79, v7                                 // 000000008030: 0A9E0F4F
	v_mul_f32_e32 v76, v76, v140                               // 000000008034: 0A99194C
	v_mul_f32_e32 v77, v77, v141                               // 000000008038: 0A9B1B4D
	v_mul_f32_e32 v78, v78, v142                               // 00000000803C: 0A9D1D4E
	v_mul_f32_e32 v79, v79, v143                               // 000000008040: 0A9F1F4F
	v_mul_f32_e64 v4, -v80, s6                                 // 000000008044: D1050004 20000D50
	v_mul_f32_e64 v5, -v81, s6                                 // 00000000804C: D1050005 20000D51
	v_mul_f32_e64 v6, -v82, s6                                 // 000000008054: D1050006 20000D52
	v_mul_f32_e64 v7, -v83, s6                                 // 00000000805C: D1050007 20000D53
	v_exp_f32_e32 v4, v4                                       // 000000008064: 7E084104
	v_exp_f32_e32 v5, v5                                       // 000000008068: 7E0A4105
	v_exp_f32_e32 v6, v6                                       // 00000000806C: 7E0C4106
	v_exp_f32_e32 v7, v7                                       // 000000008070: 7E0E4107
	v_add_f32_e64 v4, v4, 1.0                                  // 000000008074: D1010004 0001E504
	v_add_f32_e64 v5, v5, 1.0                                  // 00000000807C: D1010005 0001E505
	v_add_f32_e64 v6, v6, 1.0                                  // 000000008084: D1010006 0001E506
	v_add_f32_e64 v7, v7, 1.0                                  // 00000000808C: D1010007 0001E507
	v_rcp_f32_e32 v4, v4                                       // 000000008094: 7E084504
	v_rcp_f32_e32 v5, v5                                       // 000000008098: 7E0A4505
	v_rcp_f32_e32 v6, v6                                       // 00000000809C: 7E0C4506
	v_rcp_f32_e32 v7, v7                                       // 0000000080A0: 7E0E4507
	v_mul_f32_e32 v80, v80, v4                                 // 0000000080A4: 0AA00950
	v_mul_f32_e32 v81, v81, v5                                 // 0000000080A8: 0AA20B51
	v_mul_f32_e32 v82, v82, v6                                 // 0000000080AC: 0AA40D52
	v_mul_f32_e32 v83, v83, v7                                 // 0000000080B0: 0AA60F53
	v_mul_f32_e32 v80, v80, v144                               // 0000000080B4: 0AA12150
	v_mul_f32_e32 v81, v81, v145                               // 0000000080B8: 0AA32351
	v_mul_f32_e32 v82, v82, v146                               // 0000000080BC: 0AA52552
	v_mul_f32_e32 v83, v83, v147                               // 0000000080C0: 0AA72753
	v_mul_f32_e64 v4, -v84, s6                                 // 0000000080C4: D1050004 20000D54
	v_mul_f32_e64 v5, -v85, s6                                 // 0000000080CC: D1050005 20000D55
	v_mul_f32_e64 v6, -v86, s6                                 // 0000000080D4: D1050006 20000D56
	v_mul_f32_e64 v7, -v87, s6                                 // 0000000080DC: D1050007 20000D57
	v_exp_f32_e32 v4, v4                                       // 0000000080E4: 7E084104
	v_exp_f32_e32 v5, v5                                       // 0000000080E8: 7E0A4105
	v_exp_f32_e32 v6, v6                                       // 0000000080EC: 7E0C4106
	v_exp_f32_e32 v7, v7                                       // 0000000080F0: 7E0E4107
	v_add_f32_e64 v4, v4, 1.0                                  // 0000000080F4: D1010004 0001E504
	v_add_f32_e64 v5, v5, 1.0                                  // 0000000080FC: D1010005 0001E505
	v_add_f32_e64 v6, v6, 1.0                                  // 000000008104: D1010006 0001E506
	v_add_f32_e64 v7, v7, 1.0                                  // 00000000810C: D1010007 0001E507
	v_rcp_f32_e32 v4, v4                                       // 000000008114: 7E084504
	v_rcp_f32_e32 v5, v5                                       // 000000008118: 7E0A4505
	v_rcp_f32_e32 v6, v6                                       // 00000000811C: 7E0C4506
	v_rcp_f32_e32 v7, v7                                       // 000000008120: 7E0E4507
	v_mul_f32_e32 v84, v84, v4                                 // 000000008124: 0AA80954
	v_mul_f32_e32 v85, v85, v5                                 // 000000008128: 0AAA0B55
	v_mul_f32_e32 v86, v86, v6                                 // 00000000812C: 0AAC0D56
	v_mul_f32_e32 v87, v87, v7                                 // 000000008130: 0AAE0F57
	v_mul_f32_e32 v84, v84, v148                               // 000000008134: 0AA92954
	v_mul_f32_e32 v85, v85, v149                               // 000000008138: 0AAB2B55
	v_mul_f32_e32 v86, v86, v150                               // 00000000813C: 0AAD2D56
	v_mul_f32_e32 v87, v87, v151                               // 000000008140: 0AAF2F57
	v_mul_f32_e64 v4, -v88, s6                                 // 000000008144: D1050004 20000D58
	v_mul_f32_e64 v5, -v89, s6                                 // 00000000814C: D1050005 20000D59
	v_mul_f32_e64 v6, -v90, s6                                 // 000000008154: D1050006 20000D5A
	v_mul_f32_e64 v7, -v91, s6                                 // 00000000815C: D1050007 20000D5B
	v_exp_f32_e32 v4, v4                                       // 000000008164: 7E084104
	v_exp_f32_e32 v5, v5                                       // 000000008168: 7E0A4105
	v_exp_f32_e32 v6, v6                                       // 00000000816C: 7E0C4106
	v_exp_f32_e32 v7, v7                                       // 000000008170: 7E0E4107
	v_add_f32_e64 v4, v4, 1.0                                  // 000000008174: D1010004 0001E504
	v_add_f32_e64 v5, v5, 1.0                                  // 00000000817C: D1010005 0001E505
	v_add_f32_e64 v6, v6, 1.0                                  // 000000008184: D1010006 0001E506
	v_add_f32_e64 v7, v7, 1.0                                  // 00000000818C: D1010007 0001E507
	v_rcp_f32_e32 v4, v4                                       // 000000008194: 7E084504
	v_rcp_f32_e32 v5, v5                                       // 000000008198: 7E0A4505
	v_rcp_f32_e32 v6, v6                                       // 00000000819C: 7E0C4506
	v_rcp_f32_e32 v7, v7                                       // 0000000081A0: 7E0E4507
	v_mul_f32_e32 v88, v88, v4                                 // 0000000081A4: 0AB00958
	v_mul_f32_e32 v89, v89, v5                                 // 0000000081A8: 0AB20B59
	v_mul_f32_e32 v90, v90, v6                                 // 0000000081AC: 0AB40D5A
	v_mul_f32_e32 v91, v91, v7                                 // 0000000081B0: 0AB60F5B
	v_mul_f32_e32 v88, v88, v152                               // 0000000081B4: 0AB13158
	v_mul_f32_e32 v89, v89, v153                               // 0000000081B8: 0AB33359
	v_mul_f32_e32 v90, v90, v154                               // 0000000081BC: 0AB5355A
	v_mul_f32_e32 v91, v91, v155                               // 0000000081C0: 0AB7375B
	v_mul_f32_e64 v4, -v92, s6                                 // 0000000081C4: D1050004 20000D5C
	v_mul_f32_e64 v5, -v93, s6                                 // 0000000081CC: D1050005 20000D5D
	v_mul_f32_e64 v6, -v94, s6                                 // 0000000081D4: D1050006 20000D5E
	v_mul_f32_e64 v7, -v95, s6                                 // 0000000081DC: D1050007 20000D5F
	v_exp_f32_e32 v4, v4                                       // 0000000081E4: 7E084104
	v_exp_f32_e32 v5, v5                                       // 0000000081E8: 7E0A4105
	v_exp_f32_e32 v6, v6                                       // 0000000081EC: 7E0C4106
	v_exp_f32_e32 v7, v7                                       // 0000000081F0: 7E0E4107
	v_add_f32_e64 v4, v4, 1.0                                  // 0000000081F4: D1010004 0001E504
	v_add_f32_e64 v5, v5, 1.0                                  // 0000000081FC: D1010005 0001E505
	v_add_f32_e64 v6, v6, 1.0                                  // 000000008204: D1010006 0001E506
	v_add_f32_e64 v7, v7, 1.0                                  // 00000000820C: D1010007 0001E507
	v_rcp_f32_e32 v4, v4                                       // 000000008214: 7E084504
	v_rcp_f32_e32 v5, v5                                       // 000000008218: 7E0A4505
	v_rcp_f32_e32 v6, v6                                       // 00000000821C: 7E0C4506
	v_rcp_f32_e32 v7, v7                                       // 000000008220: 7E0E4507
	v_mul_f32_e32 v92, v92, v4                                 // 000000008224: 0AB8095C
	v_mul_f32_e32 v93, v93, v5                                 // 000000008228: 0ABA0B5D
	v_mul_f32_e32 v94, v94, v6                                 // 00000000822C: 0ABC0D5E
	v_mul_f32_e32 v95, v95, v7                                 // 000000008230: 0ABE0F5F
	v_mul_f32_e32 v92, v92, v156                               // 000000008234: 0AB9395C
	v_mul_f32_e32 v93, v93, v157                               // 000000008238: 0ABB3B5D
	v_mul_f32_e32 v94, v94, v158                               // 00000000823C: 0ABD3D5E
	v_mul_f32_e32 v95, v95, v159                               // 000000008240: 0ABF3F5F
	v_mul_f32_e64 v4, -v96, s6                                 // 000000008244: D1050004 20000D60
	v_mul_f32_e64 v5, -v97, s6                                 // 00000000824C: D1050005 20000D61
	v_mul_f32_e64 v6, -v98, s6                                 // 000000008254: D1050006 20000D62
	v_mul_f32_e64 v7, -v99, s6                                 // 00000000825C: D1050007 20000D63
	v_exp_f32_e32 v4, v4                                       // 000000008264: 7E084104
	v_exp_f32_e32 v5, v5                                       // 000000008268: 7E0A4105
	v_exp_f32_e32 v6, v6                                       // 00000000826C: 7E0C4106
	v_exp_f32_e32 v7, v7                                       // 000000008270: 7E0E4107
	v_add_f32_e64 v4, v4, 1.0                                  // 000000008274: D1010004 0001E504
	v_add_f32_e64 v5, v5, 1.0                                  // 00000000827C: D1010005 0001E505
	v_add_f32_e64 v6, v6, 1.0                                  // 000000008284: D1010006 0001E506
	v_add_f32_e64 v7, v7, 1.0                                  // 00000000828C: D1010007 0001E507
	v_rcp_f32_e32 v4, v4                                       // 000000008294: 7E084504
	v_rcp_f32_e32 v5, v5                                       // 000000008298: 7E0A4505
	v_rcp_f32_e32 v6, v6                                       // 00000000829C: 7E0C4506
	v_rcp_f32_e32 v7, v7                                       // 0000000082A0: 7E0E4507
	v_mul_f32_e32 v96, v96, v4                                 // 0000000082A4: 0AC00960
	v_mul_f32_e32 v97, v97, v5                                 // 0000000082A8: 0AC20B61
	v_mul_f32_e32 v98, v98, v6                                 // 0000000082AC: 0AC40D62
	v_mul_f32_e32 v99, v99, v7                                 // 0000000082B0: 0AC60F63
	v_mul_f32_e32 v96, v96, v160                               // 0000000082B4: 0AC14160
	v_mul_f32_e32 v97, v97, v161                               // 0000000082B8: 0AC34361
	v_mul_f32_e32 v98, v98, v162                               // 0000000082BC: 0AC54562
	v_mul_f32_e32 v99, v99, v163                               // 0000000082C0: 0AC74763
	v_mul_f32_e64 v4, -v100, s6                                // 0000000082C4: D1050004 20000D64
	v_mul_f32_e64 v5, -v101, s6                                // 0000000082CC: D1050005 20000D65
	v_mul_f32_e64 v6, -v102, s6                                // 0000000082D4: D1050006 20000D66
	v_mul_f32_e64 v7, -v103, s6                                // 0000000082DC: D1050007 20000D67
	v_exp_f32_e32 v4, v4                                       // 0000000082E4: 7E084104
	v_exp_f32_e32 v5, v5                                       // 0000000082E8: 7E0A4105
	v_exp_f32_e32 v6, v6                                       // 0000000082EC: 7E0C4106
	v_exp_f32_e32 v7, v7                                       // 0000000082F0: 7E0E4107
	v_add_f32_e64 v4, v4, 1.0                                  // 0000000082F4: D1010004 0001E504
	v_add_f32_e64 v5, v5, 1.0                                  // 0000000082FC: D1010005 0001E505
	v_add_f32_e64 v6, v6, 1.0                                  // 000000008304: D1010006 0001E506
	v_add_f32_e64 v7, v7, 1.0                                  // 00000000830C: D1010007 0001E507
	v_rcp_f32_e32 v4, v4                                       // 000000008314: 7E084504
	v_rcp_f32_e32 v5, v5                                       // 000000008318: 7E0A4505
	v_rcp_f32_e32 v6, v6                                       // 00000000831C: 7E0C4506
	v_rcp_f32_e32 v7, v7                                       // 000000008320: 7E0E4507
	v_mul_f32_e32 v100, v100, v4                               // 000000008324: 0AC80964
	v_mul_f32_e32 v101, v101, v5                               // 000000008328: 0ACA0B65
	v_mul_f32_e32 v102, v102, v6                               // 00000000832C: 0ACC0D66
	v_mul_f32_e32 v103, v103, v7                               // 000000008330: 0ACE0F67
	v_mul_f32_e32 v100, v100, v164                             // 000000008334: 0AC94964
	v_mul_f32_e32 v101, v101, v165                             // 000000008338: 0ACB4B65
	v_mul_f32_e32 v102, v102, v166                             // 00000000833C: 0ACD4D66
	v_mul_f32_e32 v103, v103, v167                             // 000000008340: 0ACF4F67
	v_mul_f32_e64 v4, -v104, s6                                // 000000008344: D1050004 20000D68
	v_mul_f32_e64 v5, -v105, s6                                // 00000000834C: D1050005 20000D69
	v_mul_f32_e64 v6, -v106, s6                                // 000000008354: D1050006 20000D6A
	v_mul_f32_e64 v7, -v107, s6                                // 00000000835C: D1050007 20000D6B
	v_exp_f32_e32 v4, v4                                       // 000000008364: 7E084104
	v_exp_f32_e32 v5, v5                                       // 000000008368: 7E0A4105
	v_exp_f32_e32 v6, v6                                       // 00000000836C: 7E0C4106
	v_exp_f32_e32 v7, v7                                       // 000000008370: 7E0E4107
	v_add_f32_e64 v4, v4, 1.0                                  // 000000008374: D1010004 0001E504
	v_add_f32_e64 v5, v5, 1.0                                  // 00000000837C: D1010005 0001E505
	v_add_f32_e64 v6, v6, 1.0                                  // 000000008384: D1010006 0001E506
	v_add_f32_e64 v7, v7, 1.0                                  // 00000000838C: D1010007 0001E507
	v_rcp_f32_e32 v4, v4                                       // 000000008394: 7E084504
	v_rcp_f32_e32 v5, v5                                       // 000000008398: 7E0A4505
	v_rcp_f32_e32 v6, v6                                       // 00000000839C: 7E0C4506
	v_rcp_f32_e32 v7, v7                                       // 0000000083A0: 7E0E4507
	v_mul_f32_e32 v104, v104, v4                               // 0000000083A4: 0AD00968
	v_mul_f32_e32 v105, v105, v5                               // 0000000083A8: 0AD20B69
	v_mul_f32_e32 v106, v106, v6                               // 0000000083AC: 0AD40D6A
	v_mul_f32_e32 v107, v107, v7                               // 0000000083B0: 0AD60F6B
	v_mul_f32_e32 v104, v104, v168                             // 0000000083B4: 0AD15168
	v_mul_f32_e32 v105, v105, v169                             // 0000000083B8: 0AD35369
	v_mul_f32_e32 v106, v106, v170                             // 0000000083BC: 0AD5556A
	v_mul_f32_e32 v107, v107, v171                             // 0000000083C0: 0AD7576B
	v_mul_f32_e64 v4, -v108, s6                                // 0000000083C4: D1050004 20000D6C
	v_mul_f32_e64 v5, -v109, s6                                // 0000000083CC: D1050005 20000D6D
	v_mul_f32_e64 v6, -v110, s6                                // 0000000083D4: D1050006 20000D6E
	v_mul_f32_e64 v7, -v111, s6                                // 0000000083DC: D1050007 20000D6F
	v_exp_f32_e32 v4, v4                                       // 0000000083E4: 7E084104
	v_exp_f32_e32 v5, v5                                       // 0000000083E8: 7E0A4105
	v_exp_f32_e32 v6, v6                                       // 0000000083EC: 7E0C4106
	v_exp_f32_e32 v7, v7                                       // 0000000083F0: 7E0E4107
	v_add_f32_e64 v4, v4, 1.0                                  // 0000000083F4: D1010004 0001E504
	v_add_f32_e64 v5, v5, 1.0                                  // 0000000083FC: D1010005 0001E505
	v_add_f32_e64 v6, v6, 1.0                                  // 000000008404: D1010006 0001E506
	v_add_f32_e64 v7, v7, 1.0                                  // 00000000840C: D1010007 0001E507
	v_rcp_f32_e32 v4, v4                                       // 000000008414: 7E084504
	v_rcp_f32_e32 v5, v5                                       // 000000008418: 7E0A4505
	v_rcp_f32_e32 v6, v6                                       // 00000000841C: 7E0C4506
	v_rcp_f32_e32 v7, v7                                       // 000000008420: 7E0E4507
	v_mul_f32_e32 v108, v108, v4                               // 000000008424: 0AD8096C
	v_mul_f32_e32 v109, v109, v5                               // 000000008428: 0ADA0B6D
	v_mul_f32_e32 v110, v110, v6                               // 00000000842C: 0ADC0D6E
	v_mul_f32_e32 v111, v111, v7                               // 000000008430: 0ADE0F6F
	v_mul_f32_e32 v108, v108, v172                             // 000000008434: 0AD9596C
	v_mul_f32_e32 v109, v109, v173                             // 000000008438: 0ADB5B6D
	v_mul_f32_e32 v110, v110, v174                             // 00000000843C: 0ADD5D6E
	v_mul_f32_e32 v111, v111, v175                             // 000000008440: 0ADF5F6F
	v_mul_f32_e64 v4, -v112, s6                                // 000000008444: D1050004 20000D70
	v_mul_f32_e64 v5, -v113, s6                                // 00000000844C: D1050005 20000D71
	v_mul_f32_e64 v6, -v114, s6                                // 000000008454: D1050006 20000D72
	v_mul_f32_e64 v7, -v115, s6                                // 00000000845C: D1050007 20000D73
	v_exp_f32_e32 v4, v4                                       // 000000008464: 7E084104
	v_exp_f32_e32 v5, v5                                       // 000000008468: 7E0A4105
	v_exp_f32_e32 v6, v6                                       // 00000000846C: 7E0C4106
	v_exp_f32_e32 v7, v7                                       // 000000008470: 7E0E4107
	v_add_f32_e64 v4, v4, 1.0                                  // 000000008474: D1010004 0001E504
	v_add_f32_e64 v5, v5, 1.0                                  // 00000000847C: D1010005 0001E505
	v_add_f32_e64 v6, v6, 1.0                                  // 000000008484: D1010006 0001E506
	v_add_f32_e64 v7, v7, 1.0                                  // 00000000848C: D1010007 0001E507
	v_rcp_f32_e32 v4, v4                                       // 000000008494: 7E084504
	v_rcp_f32_e32 v5, v5                                       // 000000008498: 7E0A4505
	v_rcp_f32_e32 v6, v6                                       // 00000000849C: 7E0C4506
	v_rcp_f32_e32 v7, v7                                       // 0000000084A0: 7E0E4507
	v_mul_f32_e32 v112, v112, v4                               // 0000000084A4: 0AE00970
	v_mul_f32_e32 v113, v113, v5                               // 0000000084A8: 0AE20B71
	v_mul_f32_e32 v114, v114, v6                               // 0000000084AC: 0AE40D72
	v_mul_f32_e32 v115, v115, v7                               // 0000000084B0: 0AE60F73
	v_mul_f32_e32 v112, v112, v176                             // 0000000084B4: 0AE16170
	v_mul_f32_e32 v113, v113, v177                             // 0000000084B8: 0AE36371
	v_mul_f32_e32 v114, v114, v178                             // 0000000084BC: 0AE56572
	v_mul_f32_e32 v115, v115, v179                             // 0000000084C0: 0AE76773

00000000000084c4 <label_16B1>:
	s_cmp_eq_u32 s7, 0                                         // 0000000084C4: BF068007
	s_cbranch_scc0 label_16BB                                  // 0000000084C8: BF840008
	v_and_b32_e32 v4, 15, v0                                   // 0000000084CC: 2608008F
	v_lshlrev_b32_e32 v4, 2, v4                                // 0000000084D0: 24080882
	buffer_load_dword v30, v4, s[12:15], 0 offen               // 0000000084D4: E0501000 80031E04
	v_add_u32_e32 v4, 64, v4                                   // 0000000084DC: 680808C0
	buffer_load_dword v31, v4, s[12:15], 0 offen               // 0000000084E0: E0501000 80031F04
	v_add_u32_e32 v4, 64, v4                                   // 0000000084E8: 680808C0

00000000000084ec <label_16BB>:
	v_lshlrev_b32_e32 v4, 2, v0                                // 0000000084EC: 24080082
	s_mul_i32 s60, 0x100, s7                                   // 0000000084F0: 923C07FF 00000100
	v_add_u32_e32 v124, s60, v4                                // 0000000084F8: 68F8083C
	v_and_b32_e32 v4, 15, v0                                   // 0000000084FC: 2608008F
	v_lshlrev_b32_e32 v125, 2, v4                              // 000000008500: 24FA0882
	s_waitcnt lgkmcnt(0)                                       // 000000008504: BF8CC07F
	s_barrier                                                  // 000000008508: BF8A0000
	v_mov_b32_e32 v116, 0x358637bd                             // 00000000850C: 7EE802FF 358637BD
	v_max3_f32 v116, |v52|, |v53|, v116                        // 000000008514: D1D30374 05D26B34
	v_max3_f32 v116, |v54|, |v55|, v116                        // 00000000851C: D1D30374 05D26F36
	v_max3_f32 v116, |v60|, |v61|, v116                        // 000000008524: D1D30374 05D27B3C
	v_max3_f32 v116, |v62|, |v63|, v116                        // 00000000852C: D1D30374 05D27F3E
	ds_write_b32 v124, v116                                    // 000000008534: D81A0000 0000747C
	s_waitcnt lgkmcnt(0)                                       // 00000000853C: BF8CC07F
	s_barrier                                                  // 000000008540: BF8A0000
	ds_read_b32 v4, v125                                       // 000000008544: D86C0000 0400007D
	ds_read_b32 v5, v125 offset:64                             // 00000000854C: D86C0040 0500007D
	ds_read_b32 v6, v125 offset:128                            // 000000008554: D86C0080 0600007D
	ds_read_b32 v7, v125 offset:192                            // 00000000855C: D86C00C0 0700007D
	ds_read_b32 v8, v125 offset:256                            // 000000008564: D86C0100 0800007D
	ds_read_b32 v9, v125 offset:320                            // 00000000856C: D86C0140 0900007D
	ds_read_b32 v10, v125 offset:384                           // 000000008574: D86C0180 0A00007D
	ds_read_b32 v11, v125 offset:448                           // 00000000857C: D86C01C0 0B00007D
	ds_read_b32 v12, v125 offset:512                           // 000000008584: D86C0200 0C00007D
	ds_read_b32 v13, v125 offset:576                           // 00000000858C: D86C0240 0D00007D
	ds_read_b32 v14, v125 offset:640                           // 000000008594: D86C0280 0E00007D
	ds_read_b32 v15, v125 offset:704                           // 00000000859C: D86C02C0 0F00007D
	ds_read_b32 v16, v125 offset:768                           // 0000000085A4: D86C0300 1000007D
	ds_read_b32 v17, v125 offset:832                           // 0000000085AC: D86C0340 1100007D
	ds_read_b32 v18, v125 offset:896                           // 0000000085B4: D86C0380 1200007D
	ds_read_b32 v19, v125 offset:960                           // 0000000085BC: D86C03C0 1300007D
	s_waitcnt lgkmcnt(0)                                       // 0000000085C4: BF8CC07F
	s_barrier                                                  // 0000000085C8: BF8A0000
	v_max3_f32 v116, |v4|, |v5|, v116                          // 0000000085CC: D1D30374 05D20B04
	v_max3_f32 v116, |v6|, |v7|, v116                          // 0000000085D4: D1D30374 05D20F06
	v_max3_f32 v116, |v8|, |v9|, v116                          // 0000000085DC: D1D30374 05D21308
	v_max3_f32 v116, |v10|, |v11|, v116                        // 0000000085E4: D1D30374 05D2170A
	v_max3_f32 v116, |v12|, |v13|, v116                        // 0000000085EC: D1D30374 05D21B0C
	v_max3_f32 v116, |v14|, |v15|, v116                        // 0000000085F4: D1D30374 05D21F0E
	v_max3_f32 v116, |v16|, |v17|, v116                        // 0000000085FC: D1D30374 05D22310
	v_max3_f32 v116, |v18|, |v19|, v116                        // 000000008604: D1D30374 05D22712
	v_rcp_f32_e32 v116, v116                                   // 00000000860C: 7EE84574
	v_mov_b32_e32 v4, 0x43700000                               // 000000008610: 7E0802FF 43700000
	v_mul_f32_e32 v116, v4, v116                               // 000000008618: 0AE8E904
	v_mov_b32_e32 v4, v116                                     // 00000000861C: 7E080374
	v_mov_b32_e32 v5, v4                                       // 000000008620: 7E0A0304
	v_pk_mul_f32 v[52:53], v[4:5], v[52:53]                    // 000000008624: D3B14034 18026904
	v_pk_mul_f32 v[54:55], v[4:5], v[54:55]                    // 00000000862C: D3B14036 18026D04
	v_cvt_pk_fp8_f32 v52, v52, v53                             // 000000008634: D2A20034 00026B34
	v_cvt_pk_fp8_f32 v52, v54, v55 op_sel:[0,0,1]              // 00000000863C: D2A24034 00026F36
	v_pk_mul_f32 v[60:61], v[4:5], v[60:61]                    // 000000008644: D3B1403C 18027904
	v_pk_mul_f32 v[62:63], v[4:5], v[62:63]                    // 00000000864C: D3B1403E 18027D04
	v_cvt_pk_fp8_f32 v60, v60, v61                             // 000000008654: D2A2003C 00027B3C
	v_cvt_pk_fp8_f32 v60, v62, v63 op_sel:[0,0,1]              // 00000000865C: D2A2403C 00027F3E
	v_rcp_f32_e32 v116, v116                                   // 000000008664: 7EE84574
	v_mov_b32_e32 v118, 0x358637bd                             // 000000008668: 7EEC02FF 358637BD
	v_max3_f32 v118, |v68|, |v69|, v118                        // 000000008670: D1D30376 05DA8B44
	v_max3_f32 v118, |v70|, |v71|, v118                        // 000000008678: D1D30376 05DA8F46
	v_max3_f32 v118, |v76|, |v77|, v118                        // 000000008680: D1D30376 05DA9B4C
	v_max3_f32 v118, |v78|, |v79|, v118                        // 000000008688: D1D30376 05DA9F4E
	ds_write_b32 v124, v118                                    // 000000008690: D81A0000 0000767C
	s_waitcnt lgkmcnt(0)                                       // 000000008698: BF8CC07F
	s_barrier                                                  // 00000000869C: BF8A0000
	ds_read_b32 v4, v125                                       // 0000000086A0: D86C0000 0400007D
	ds_read_b32 v5, v125 offset:64                             // 0000000086A8: D86C0040 0500007D
	ds_read_b32 v6, v125 offset:128                            // 0000000086B0: D86C0080 0600007D
	ds_read_b32 v7, v125 offset:192                            // 0000000086B8: D86C00C0 0700007D
	ds_read_b32 v8, v125 offset:256                            // 0000000086C0: D86C0100 0800007D
	ds_read_b32 v9, v125 offset:320                            // 0000000086C8: D86C0140 0900007D
	ds_read_b32 v10, v125 offset:384                           // 0000000086D0: D86C0180 0A00007D
	ds_read_b32 v11, v125 offset:448                           // 0000000086D8: D86C01C0 0B00007D
	ds_read_b32 v12, v125 offset:512                           // 0000000086E0: D86C0200 0C00007D
	ds_read_b32 v13, v125 offset:576                           // 0000000086E8: D86C0240 0D00007D
	ds_read_b32 v14, v125 offset:640                           // 0000000086F0: D86C0280 0E00007D
	ds_read_b32 v15, v125 offset:704                           // 0000000086F8: D86C02C0 0F00007D
	ds_read_b32 v16, v125 offset:768                           // 000000008700: D86C0300 1000007D
	ds_read_b32 v17, v125 offset:832                           // 000000008708: D86C0340 1100007D
	ds_read_b32 v18, v125 offset:896                           // 000000008710: D86C0380 1200007D
	ds_read_b32 v19, v125 offset:960                           // 000000008718: D86C03C0 1300007D
	s_waitcnt lgkmcnt(0)                                       // 000000008720: BF8CC07F
	s_barrier                                                  // 000000008724: BF8A0000
	v_max3_f32 v118, |v4|, |v5|, v118                          // 000000008728: D1D30376 05DA0B04
	v_max3_f32 v118, |v6|, |v7|, v118                          // 000000008730: D1D30376 05DA0F06
	v_max3_f32 v118, |v8|, |v9|, v118                          // 000000008738: D1D30376 05DA1308
	v_max3_f32 v118, |v10|, |v11|, v118                        // 000000008740: D1D30376 05DA170A
	v_max3_f32 v118, |v12|, |v13|, v118                        // 000000008748: D1D30376 05DA1B0C
	v_max3_f32 v118, |v14|, |v15|, v118                        // 000000008750: D1D30376 05DA1F0E
	v_max3_f32 v118, |v16|, |v17|, v118                        // 000000008758: D1D30376 05DA2310
	v_max3_f32 v118, |v18|, |v19|, v118                        // 000000008760: D1D30376 05DA2712
	v_rcp_f32_e32 v118, v118                                   // 000000008768: 7EEC4576
	v_mov_b32_e32 v4, 0x43700000                               // 00000000876C: 7E0802FF 43700000
	v_mul_f32_e32 v118, v4, v118                               // 000000008774: 0AECED04
	v_mov_b32_e32 v4, v118                                     // 000000008778: 7E080376
	v_mov_b32_e32 v5, v4                                       // 00000000877C: 7E0A0304
	v_pk_mul_f32 v[68:69], v[4:5], v[68:69]                    // 000000008780: D3B14044 18028904
	v_pk_mul_f32 v[70:71], v[4:5], v[70:71]                    // 000000008788: D3B14046 18028D04
	v_cvt_pk_fp8_f32 v68, v68, v69                             // 000000008790: D2A20044 00028B44
	v_cvt_pk_fp8_f32 v68, v70, v71 op_sel:[0,0,1]              // 000000008798: D2A24044 00028F46
	v_pk_mul_f32 v[76:77], v[4:5], v[76:77]                    // 0000000087A0: D3B1404C 18029904
	v_pk_mul_f32 v[78:79], v[4:5], v[78:79]                    // 0000000087A8: D3B1404E 18029D04
	v_cvt_pk_fp8_f32 v76, v76, v77                             // 0000000087B0: D2A2004C 00029B4C
	v_cvt_pk_fp8_f32 v76, v78, v79 op_sel:[0,0,1]              // 0000000087B8: D2A2404C 00029F4E
	v_rcp_f32_e32 v118, v118                                   // 0000000087C0: 7EEC4576
	v_mov_b32_e32 v120, 0x358637bd                             // 0000000087C4: 7EF002FF 358637BD
	v_max3_f32 v120, |v84|, |v85|, v120                        // 0000000087CC: D1D30378 05E2AB54
	v_max3_f32 v120, |v86|, |v87|, v120                        // 0000000087D4: D1D30378 05E2AF56
	v_max3_f32 v120, |v92|, |v93|, v120                        // 0000000087DC: D1D30378 05E2BB5C
	v_max3_f32 v120, |v94|, |v95|, v120                        // 0000000087E4: D1D30378 05E2BF5E
	ds_write_b32 v124, v120                                    // 0000000087EC: D81A0000 0000787C
	s_waitcnt lgkmcnt(0)                                       // 0000000087F4: BF8CC07F
	s_barrier                                                  // 0000000087F8: BF8A0000
	ds_read_b32 v4, v125                                       // 0000000087FC: D86C0000 0400007D
	ds_read_b32 v5, v125 offset:64                             // 000000008804: D86C0040 0500007D
	ds_read_b32 v6, v125 offset:128                            // 00000000880C: D86C0080 0600007D
	ds_read_b32 v7, v125 offset:192                            // 000000008814: D86C00C0 0700007D
	ds_read_b32 v8, v125 offset:256                            // 00000000881C: D86C0100 0800007D
	ds_read_b32 v9, v125 offset:320                            // 000000008824: D86C0140 0900007D
	ds_read_b32 v10, v125 offset:384                           // 00000000882C: D86C0180 0A00007D
	ds_read_b32 v11, v125 offset:448                           // 000000008834: D86C01C0 0B00007D
	ds_read_b32 v12, v125 offset:512                           // 00000000883C: D86C0200 0C00007D
	ds_read_b32 v13, v125 offset:576                           // 000000008844: D86C0240 0D00007D
	ds_read_b32 v14, v125 offset:640                           // 00000000884C: D86C0280 0E00007D
	ds_read_b32 v15, v125 offset:704                           // 000000008854: D86C02C0 0F00007D
	ds_read_b32 v16, v125 offset:768                           // 00000000885C: D86C0300 1000007D
	ds_read_b32 v17, v125 offset:832                           // 000000008864: D86C0340 1100007D
	ds_read_b32 v18, v125 offset:896                           // 00000000886C: D86C0380 1200007D
	ds_read_b32 v19, v125 offset:960                           // 000000008874: D86C03C0 1300007D
	s_waitcnt lgkmcnt(0)                                       // 00000000887C: BF8CC07F
	s_barrier                                                  // 000000008880: BF8A0000
	v_max3_f32 v120, |v4|, |v5|, v120                          // 000000008884: D1D30378 05E20B04
	v_max3_f32 v120, |v6|, |v7|, v120                          // 00000000888C: D1D30378 05E20F06
	v_max3_f32 v120, |v8|, |v9|, v120                          // 000000008894: D1D30378 05E21308
	v_max3_f32 v120, |v10|, |v11|, v120                        // 00000000889C: D1D30378 05E2170A
	v_max3_f32 v120, |v12|, |v13|, v120                        // 0000000088A4: D1D30378 05E21B0C
	v_max3_f32 v120, |v14|, |v15|, v120                        // 0000000088AC: D1D30378 05E21F0E
	v_max3_f32 v120, |v16|, |v17|, v120                        // 0000000088B4: D1D30378 05E22310
	v_max3_f32 v120, |v18|, |v19|, v120                        // 0000000088BC: D1D30378 05E22712
	v_rcp_f32_e32 v120, v120                                   // 0000000088C4: 7EF04578
	v_mov_b32_e32 v4, 0x43700000                               // 0000000088C8: 7E0802FF 43700000
	v_mul_f32_e32 v120, v4, v120                               // 0000000088D0: 0AF0F104
	v_mov_b32_e32 v4, v120                                     // 0000000088D4: 7E080378
	v_mov_b32_e32 v5, v4                                       // 0000000088D8: 7E0A0304
	v_pk_mul_f32 v[84:85], v[4:5], v[84:85]                    // 0000000088DC: D3B14054 1802A904
	v_pk_mul_f32 v[86:87], v[4:5], v[86:87]                    // 0000000088E4: D3B14056 1802AD04
	v_cvt_pk_fp8_f32 v84, v84, v85                             // 0000000088EC: D2A20054 0002AB54
	v_cvt_pk_fp8_f32 v84, v86, v87 op_sel:[0,0,1]              // 0000000088F4: D2A24054 0002AF56
	v_pk_mul_f32 v[92:93], v[4:5], v[92:93]                    // 0000000088FC: D3B1405C 1802B904
	v_pk_mul_f32 v[94:95], v[4:5], v[94:95]                    // 000000008904: D3B1405E 1802BD04
	v_cvt_pk_fp8_f32 v92, v92, v93                             // 00000000890C: D2A2005C 0002BB5C
	v_cvt_pk_fp8_f32 v92, v94, v95 op_sel:[0,0,1]              // 000000008914: D2A2405C 0002BF5E
	v_rcp_f32_e32 v120, v120                                   // 00000000891C: 7EF04578
	v_mov_b32_e32 v122, 0x358637bd                             // 000000008920: 7EF402FF 358637BD
	v_max3_f32 v122, |v100|, |v101|, v122                      // 000000008928: D1D3037A 05EACB64
	v_max3_f32 v122, |v102|, |v103|, v122                      // 000000008930: D1D3037A 05EACF66
	v_max3_f32 v122, |v108|, |v109|, v122                      // 000000008938: D1D3037A 05EADB6C
	v_max3_f32 v122, |v110|, |v111|, v122                      // 000000008940: D1D3037A 05EADF6E
	ds_write_b32 v124, v122                                    // 000000008948: D81A0000 00007A7C
	s_waitcnt lgkmcnt(0)                                       // 000000008950: BF8CC07F
	s_barrier                                                  // 000000008954: BF8A0000
	ds_read_b32 v4, v125                                       // 000000008958: D86C0000 0400007D
	ds_read_b32 v5, v125 offset:64                             // 000000008960: D86C0040 0500007D
	ds_read_b32 v6, v125 offset:128                            // 000000008968: D86C0080 0600007D
	ds_read_b32 v7, v125 offset:192                            // 000000008970: D86C00C0 0700007D
	ds_read_b32 v8, v125 offset:256                            // 000000008978: D86C0100 0800007D
	ds_read_b32 v9, v125 offset:320                            // 000000008980: D86C0140 0900007D
	ds_read_b32 v10, v125 offset:384                           // 000000008988: D86C0180 0A00007D
	ds_read_b32 v11, v125 offset:448                           // 000000008990: D86C01C0 0B00007D
	ds_read_b32 v12, v125 offset:512                           // 000000008998: D86C0200 0C00007D
	ds_read_b32 v13, v125 offset:576                           // 0000000089A0: D86C0240 0D00007D
	ds_read_b32 v14, v125 offset:640                           // 0000000089A8: D86C0280 0E00007D
	ds_read_b32 v15, v125 offset:704                           // 0000000089B0: D86C02C0 0F00007D
	ds_read_b32 v16, v125 offset:768                           // 0000000089B8: D86C0300 1000007D
	ds_read_b32 v17, v125 offset:832                           // 0000000089C0: D86C0340 1100007D
	ds_read_b32 v18, v125 offset:896                           // 0000000089C8: D86C0380 1200007D
	ds_read_b32 v19, v125 offset:960                           // 0000000089D0: D86C03C0 1300007D
	s_waitcnt lgkmcnt(0)                                       // 0000000089D8: BF8CC07F
	s_barrier                                                  // 0000000089DC: BF8A0000
	v_max3_f32 v122, |v4|, |v5|, v122                          // 0000000089E0: D1D3037A 05EA0B04
	v_max3_f32 v122, |v6|, |v7|, v122                          // 0000000089E8: D1D3037A 05EA0F06
	v_max3_f32 v122, |v8|, |v9|, v122                          // 0000000089F0: D1D3037A 05EA1308
	v_max3_f32 v122, |v10|, |v11|, v122                        // 0000000089F8: D1D3037A 05EA170A
	v_max3_f32 v122, |v12|, |v13|, v122                        // 000000008A00: D1D3037A 05EA1B0C
	v_max3_f32 v122, |v14|, |v15|, v122                        // 000000008A08: D1D3037A 05EA1F0E
	v_max3_f32 v122, |v16|, |v17|, v122                        // 000000008A10: D1D3037A 05EA2310
	v_max3_f32 v122, |v18|, |v19|, v122                        // 000000008A18: D1D3037A 05EA2712
	v_rcp_f32_e32 v122, v122                                   // 000000008A20: 7EF4457A
	v_mov_b32_e32 v4, 0x43700000                               // 000000008A24: 7E0802FF 43700000
	v_mul_f32_e32 v122, v4, v122                               // 000000008A2C: 0AF4F504
	v_mov_b32_e32 v4, v122                                     // 000000008A30: 7E08037A
	v_mov_b32_e32 v5, v4                                       // 000000008A34: 7E0A0304
	v_pk_mul_f32 v[100:101], v[4:5], v[100:101]                // 000000008A38: D3B14064 1802C904
	v_pk_mul_f32 v[102:103], v[4:5], v[102:103]                // 000000008A40: D3B14066 1802CD04
	v_cvt_pk_fp8_f32 v100, v100, v101                          // 000000008A48: D2A20064 0002CB64
	v_cvt_pk_fp8_f32 v100, v102, v103 op_sel:[0,0,1]           // 000000008A50: D2A24064 0002CF66
	v_pk_mul_f32 v[108:109], v[4:5], v[108:109]                // 000000008A58: D3B1406C 1802D904
	v_pk_mul_f32 v[110:111], v[4:5], v[110:111]                // 000000008A60: D3B1406E 1802DD04
	v_cvt_pk_fp8_f32 v108, v108, v109                          // 000000008A68: D2A2006C 0002DB6C
	v_cvt_pk_fp8_f32 v108, v110, v111 op_sel:[0,0,1]           // 000000008A70: D2A2406C 0002DF6E
	v_rcp_f32_e32 v122, v122                                   // 000000008A78: 7EF4457A
	v_mov_b32_e32 v117, 0x358637bd                             // 000000008A7C: 7EEA02FF 358637BD
	v_max3_f32 v117, |v56|, |v57|, v117                        // 000000008A84: D1D30375 05D67338
	v_max3_f32 v117, |v58|, |v59|, v117                        // 000000008A8C: D1D30375 05D6773A
	v_max3_f32 v117, |v64|, |v65|, v117                        // 000000008A94: D1D30375 05D68340
	v_max3_f32 v117, |v66|, |v67|, v117                        // 000000008A9C: D1D30375 05D68742
	ds_write_b32 v124, v117                                    // 000000008AA4: D81A0000 0000757C
	s_waitcnt lgkmcnt(0)                                       // 000000008AAC: BF8CC07F
	s_barrier                                                  // 000000008AB0: BF8A0000
	ds_read_b32 v4, v125                                       // 000000008AB4: D86C0000 0400007D
	ds_read_b32 v5, v125 offset:64                             // 000000008ABC: D86C0040 0500007D
	ds_read_b32 v6, v125 offset:128                            // 000000008AC4: D86C0080 0600007D
	ds_read_b32 v7, v125 offset:192                            // 000000008ACC: D86C00C0 0700007D
	ds_read_b32 v8, v125 offset:256                            // 000000008AD4: D86C0100 0800007D
	ds_read_b32 v9, v125 offset:320                            // 000000008ADC: D86C0140 0900007D
	ds_read_b32 v10, v125 offset:384                           // 000000008AE4: D86C0180 0A00007D
	ds_read_b32 v11, v125 offset:448                           // 000000008AEC: D86C01C0 0B00007D
	ds_read_b32 v12, v125 offset:512                           // 000000008AF4: D86C0200 0C00007D
	ds_read_b32 v13, v125 offset:576                           // 000000008AFC: D86C0240 0D00007D
	ds_read_b32 v14, v125 offset:640                           // 000000008B04: D86C0280 0E00007D
	ds_read_b32 v15, v125 offset:704                           // 000000008B0C: D86C02C0 0F00007D
	ds_read_b32 v16, v125 offset:768                           // 000000008B14: D86C0300 1000007D
	ds_read_b32 v17, v125 offset:832                           // 000000008B1C: D86C0340 1100007D
	ds_read_b32 v18, v125 offset:896                           // 000000008B24: D86C0380 1200007D
	ds_read_b32 v19, v125 offset:960                           // 000000008B2C: D86C03C0 1300007D
	s_waitcnt lgkmcnt(0)                                       // 000000008B34: BF8CC07F
	s_barrier                                                  // 000000008B38: BF8A0000
	v_max3_f32 v117, |v4|, |v5|, v117                          // 000000008B3C: D1D30375 05D60B04
	v_max3_f32 v117, |v6|, |v7|, v117                          // 000000008B44: D1D30375 05D60F06
	v_max3_f32 v117, |v8|, |v9|, v117                          // 000000008B4C: D1D30375 05D61308
	v_max3_f32 v117, |v10|, |v11|, v117                        // 000000008B54: D1D30375 05D6170A
	v_max3_f32 v117, |v12|, |v13|, v117                        // 000000008B5C: D1D30375 05D61B0C
	v_max3_f32 v117, |v14|, |v15|, v117                        // 000000008B64: D1D30375 05D61F0E
	v_max3_f32 v117, |v16|, |v17|, v117                        // 000000008B6C: D1D30375 05D62310
	v_max3_f32 v117, |v18|, |v19|, v117                        // 000000008B74: D1D30375 05D62712
	v_rcp_f32_e32 v117, v117                                   // 000000008B7C: 7EEA4575
	v_mov_b32_e32 v4, 0x43700000                               // 000000008B80: 7E0802FF 43700000
	v_mul_f32_e32 v117, v4, v117                               // 000000008B88: 0AEAEB04
	v_mov_b32_e32 v4, v117                                     // 000000008B8C: 7E080375
	v_mov_b32_e32 v5, v4                                       // 000000008B90: 7E0A0304
	v_pk_mul_f32 v[56:57], v[4:5], v[56:57]                    // 000000008B94: D3B14038 18027104
	v_pk_mul_f32 v[58:59], v[4:5], v[58:59]                    // 000000008B9C: D3B1403A 18027504
	v_cvt_pk_fp8_f32 v56, v56, v57                             // 000000008BA4: D2A20038 00027338
	v_cvt_pk_fp8_f32 v56, v58, v59 op_sel:[0,0,1]              // 000000008BAC: D2A24038 0002773A
	v_pk_mul_f32 v[64:65], v[4:5], v[64:65]                    // 000000008BB4: D3B14040 18028104
	v_pk_mul_f32 v[66:67], v[4:5], v[66:67]                    // 000000008BBC: D3B14042 18028504
	v_cvt_pk_fp8_f32 v64, v64, v65                             // 000000008BC4: D2A20040 00028340
	v_cvt_pk_fp8_f32 v64, v66, v67 op_sel:[0,0,1]              // 000000008BCC: D2A24040 00028742
	v_rcp_f32_e32 v117, v117                                   // 000000008BD4: 7EEA4575
	v_mov_b32_e32 v119, 0x358637bd                             // 000000008BD8: 7EEE02FF 358637BD
	v_max3_f32 v119, |v72|, |v73|, v119                        // 000000008BE0: D1D30377 05DE9348
	v_max3_f32 v119, |v74|, |v75|, v119                        // 000000008BE8: D1D30377 05DE974A
	v_max3_f32 v119, |v80|, |v81|, v119                        // 000000008BF0: D1D30377 05DEA350
	v_max3_f32 v119, |v82|, |v83|, v119                        // 000000008BF8: D1D30377 05DEA752
	ds_write_b32 v124, v119                                    // 000000008C00: D81A0000 0000777C
	s_waitcnt lgkmcnt(0)                                       // 000000008C08: BF8CC07F
	s_barrier                                                  // 000000008C0C: BF8A0000
	ds_read_b32 v4, v125                                       // 000000008C10: D86C0000 0400007D
	ds_read_b32 v5, v125 offset:64                             // 000000008C18: D86C0040 0500007D
	ds_read_b32 v6, v125 offset:128                            // 000000008C20: D86C0080 0600007D
	ds_read_b32 v7, v125 offset:192                            // 000000008C28: D86C00C0 0700007D
	ds_read_b32 v8, v125 offset:256                            // 000000008C30: D86C0100 0800007D
	ds_read_b32 v9, v125 offset:320                            // 000000008C38: D86C0140 0900007D
	ds_read_b32 v10, v125 offset:384                           // 000000008C40: D86C0180 0A00007D
	ds_read_b32 v11, v125 offset:448                           // 000000008C48: D86C01C0 0B00007D
	ds_read_b32 v12, v125 offset:512                           // 000000008C50: D86C0200 0C00007D
	ds_read_b32 v13, v125 offset:576                           // 000000008C58: D86C0240 0D00007D
	ds_read_b32 v14, v125 offset:640                           // 000000008C60: D86C0280 0E00007D
	ds_read_b32 v15, v125 offset:704                           // 000000008C68: D86C02C0 0F00007D
	ds_read_b32 v16, v125 offset:768                           // 000000008C70: D86C0300 1000007D
	ds_read_b32 v17, v125 offset:832                           // 000000008C78: D86C0340 1100007D
	ds_read_b32 v18, v125 offset:896                           // 000000008C80: D86C0380 1200007D
	ds_read_b32 v19, v125 offset:960                           // 000000008C88: D86C03C0 1300007D
	s_waitcnt lgkmcnt(0)                                       // 000000008C90: BF8CC07F
	s_barrier                                                  // 000000008C94: BF8A0000
	v_max3_f32 v119, |v4|, |v5|, v119                          // 000000008C98: D1D30377 05DE0B04
	v_max3_f32 v119, |v6|, |v7|, v119                          // 000000008CA0: D1D30377 05DE0F06
	v_max3_f32 v119, |v8|, |v9|, v119                          // 000000008CA8: D1D30377 05DE1308
	v_max3_f32 v119, |v10|, |v11|, v119                        // 000000008CB0: D1D30377 05DE170A
	v_max3_f32 v119, |v12|, |v13|, v119                        // 000000008CB8: D1D30377 05DE1B0C
	v_max3_f32 v119, |v14|, |v15|, v119                        // 000000008CC0: D1D30377 05DE1F0E
	v_max3_f32 v119, |v16|, |v17|, v119                        // 000000008CC8: D1D30377 05DE2310
	v_max3_f32 v119, |v18|, |v19|, v119                        // 000000008CD0: D1D30377 05DE2712
	v_rcp_f32_e32 v119, v119                                   // 000000008CD8: 7EEE4577
	v_mov_b32_e32 v4, 0x43700000                               // 000000008CDC: 7E0802FF 43700000
	v_mul_f32_e32 v119, v4, v119                               // 000000008CE4: 0AEEEF04
	v_mov_b32_e32 v4, v119                                     // 000000008CE8: 7E080377
	v_mov_b32_e32 v5, v4                                       // 000000008CEC: 7E0A0304
	v_pk_mul_f32 v[72:73], v[4:5], v[72:73]                    // 000000008CF0: D3B14048 18029104
	v_pk_mul_f32 v[74:75], v[4:5], v[74:75]                    // 000000008CF8: D3B1404A 18029504
	v_cvt_pk_fp8_f32 v72, v72, v73                             // 000000008D00: D2A20048 00029348
	v_cvt_pk_fp8_f32 v72, v74, v75 op_sel:[0,0,1]              // 000000008D08: D2A24048 0002974A
	v_pk_mul_f32 v[80:81], v[4:5], v[80:81]                    // 000000008D10: D3B14050 1802A104
	v_pk_mul_f32 v[82:83], v[4:5], v[82:83]                    // 000000008D18: D3B14052 1802A504
	v_cvt_pk_fp8_f32 v80, v80, v81                             // 000000008D20: D2A20050 0002A350
	v_cvt_pk_fp8_f32 v80, v82, v83 op_sel:[0,0,1]              // 000000008D28: D2A24050 0002A752
	v_rcp_f32_e32 v119, v119                                   // 000000008D30: 7EEE4577
	v_mov_b32_e32 v121, 0x358637bd                             // 000000008D34: 7EF202FF 358637BD
	v_max3_f32 v121, |v88|, |v89|, v121                        // 000000008D3C: D1D30379 05E6B358
	v_max3_f32 v121, |v90|, |v91|, v121                        // 000000008D44: D1D30379 05E6B75A
	v_max3_f32 v121, |v96|, |v97|, v121                        // 000000008D4C: D1D30379 05E6C360
	v_max3_f32 v121, |v98|, |v99|, v121                        // 000000008D54: D1D30379 05E6C762
	ds_write_b32 v124, v121                                    // 000000008D5C: D81A0000 0000797C
	s_waitcnt lgkmcnt(0)                                       // 000000008D64: BF8CC07F
	s_barrier                                                  // 000000008D68: BF8A0000
	ds_read_b32 v4, v125                                       // 000000008D6C: D86C0000 0400007D
	ds_read_b32 v5, v125 offset:64                             // 000000008D74: D86C0040 0500007D
	ds_read_b32 v6, v125 offset:128                            // 000000008D7C: D86C0080 0600007D
	ds_read_b32 v7, v125 offset:192                            // 000000008D84: D86C00C0 0700007D
	ds_read_b32 v8, v125 offset:256                            // 000000008D8C: D86C0100 0800007D
	ds_read_b32 v9, v125 offset:320                            // 000000008D94: D86C0140 0900007D
	ds_read_b32 v10, v125 offset:384                           // 000000008D9C: D86C0180 0A00007D
	ds_read_b32 v11, v125 offset:448                           // 000000008DA4: D86C01C0 0B00007D
	ds_read_b32 v12, v125 offset:512                           // 000000008DAC: D86C0200 0C00007D
	ds_read_b32 v13, v125 offset:576                           // 000000008DB4: D86C0240 0D00007D
	ds_read_b32 v14, v125 offset:640                           // 000000008DBC: D86C0280 0E00007D
	ds_read_b32 v15, v125 offset:704                           // 000000008DC4: D86C02C0 0F00007D
	ds_read_b32 v16, v125 offset:768                           // 000000008DCC: D86C0300 1000007D
	ds_read_b32 v17, v125 offset:832                           // 000000008DD4: D86C0340 1100007D
	ds_read_b32 v18, v125 offset:896                           // 000000008DDC: D86C0380 1200007D
	ds_read_b32 v19, v125 offset:960                           // 000000008DE4: D86C03C0 1300007D
	s_waitcnt lgkmcnt(0)                                       // 000000008DEC: BF8CC07F
	s_barrier                                                  // 000000008DF0: BF8A0000
	v_max3_f32 v121, |v4|, |v5|, v121                          // 000000008DF4: D1D30379 05E60B04
	v_max3_f32 v121, |v6|, |v7|, v121                          // 000000008DFC: D1D30379 05E60F06
	v_max3_f32 v121, |v8|, |v9|, v121                          // 000000008E04: D1D30379 05E61308
	v_max3_f32 v121, |v10|, |v11|, v121                        // 000000008E0C: D1D30379 05E6170A
	v_max3_f32 v121, |v12|, |v13|, v121                        // 000000008E14: D1D30379 05E61B0C
	v_max3_f32 v121, |v14|, |v15|, v121                        // 000000008E1C: D1D30379 05E61F0E
	v_max3_f32 v121, |v16|, |v17|, v121                        // 000000008E24: D1D30379 05E62310
	v_max3_f32 v121, |v18|, |v19|, v121                        // 000000008E2C: D1D30379 05E62712
	v_rcp_f32_e32 v121, v121                                   // 000000008E34: 7EF24579
	v_mov_b32_e32 v4, 0x43700000                               // 000000008E38: 7E0802FF 43700000
	v_mul_f32_e32 v121, v4, v121                               // 000000008E40: 0AF2F304
	v_mov_b32_e32 v4, v121                                     // 000000008E44: 7E080379
	v_mov_b32_e32 v5, v4                                       // 000000008E48: 7E0A0304
	v_pk_mul_f32 v[88:89], v[4:5], v[88:89]                    // 000000008E4C: D3B14058 1802B104
	v_pk_mul_f32 v[90:91], v[4:5], v[90:91]                    // 000000008E54: D3B1405A 1802B504
	v_cvt_pk_fp8_f32 v88, v88, v89                             // 000000008E5C: D2A20058 0002B358
	v_cvt_pk_fp8_f32 v88, v90, v91 op_sel:[0,0,1]              // 000000008E64: D2A24058 0002B75A
	v_pk_mul_f32 v[96:97], v[4:5], v[96:97]                    // 000000008E6C: D3B14060 1802C104
	v_pk_mul_f32 v[98:99], v[4:5], v[98:99]                    // 000000008E74: D3B14062 1802C504
	v_cvt_pk_fp8_f32 v96, v96, v97                             // 000000008E7C: D2A20060 0002C360
	v_cvt_pk_fp8_f32 v96, v98, v99 op_sel:[0,0,1]              // 000000008E84: D2A24060 0002C762
	v_rcp_f32_e32 v121, v121                                   // 000000008E8C: 7EF24579
	v_mov_b32_e32 v123, 0x358637bd                             // 000000008E90: 7EF602FF 358637BD
	v_max3_f32 v123, |v104|, |v105|, v123                      // 000000008E98: D1D3037B 05EED368
	v_max3_f32 v123, |v106|, |v107|, v123                      // 000000008EA0: D1D3037B 05EED76A
	v_max3_f32 v123, |v112|, |v113|, v123                      // 000000008EA8: D1D3037B 05EEE370
	v_max3_f32 v123, |v114|, |v115|, v123                      // 000000008EB0: D1D3037B 05EEE772
	ds_write_b32 v124, v123                                    // 000000008EB8: D81A0000 00007B7C
	s_waitcnt lgkmcnt(0)                                       // 000000008EC0: BF8CC07F
	s_barrier                                                  // 000000008EC4: BF8A0000
	ds_read_b32 v4, v125                                       // 000000008EC8: D86C0000 0400007D
	ds_read_b32 v5, v125 offset:64                             // 000000008ED0: D86C0040 0500007D
	ds_read_b32 v6, v125 offset:128                            // 000000008ED8: D86C0080 0600007D
	ds_read_b32 v7, v125 offset:192                            // 000000008EE0: D86C00C0 0700007D
	ds_read_b32 v8, v125 offset:256                            // 000000008EE8: D86C0100 0800007D
	ds_read_b32 v9, v125 offset:320                            // 000000008EF0: D86C0140 0900007D
	ds_read_b32 v10, v125 offset:384                           // 000000008EF8: D86C0180 0A00007D
	ds_read_b32 v11, v125 offset:448                           // 000000008F00: D86C01C0 0B00007D
	ds_read_b32 v12, v125 offset:512                           // 000000008F08: D86C0200 0C00007D
	ds_read_b32 v13, v125 offset:576                           // 000000008F10: D86C0240 0D00007D
	ds_read_b32 v14, v125 offset:640                           // 000000008F18: D86C0280 0E00007D
	ds_read_b32 v15, v125 offset:704                           // 000000008F20: D86C02C0 0F00007D
	ds_read_b32 v16, v125 offset:768                           // 000000008F28: D86C0300 1000007D
	ds_read_b32 v17, v125 offset:832                           // 000000008F30: D86C0340 1100007D
	ds_read_b32 v18, v125 offset:896                           // 000000008F38: D86C0380 1200007D
	ds_read_b32 v19, v125 offset:960                           // 000000008F40: D86C03C0 1300007D
	s_waitcnt lgkmcnt(0)                                       // 000000008F48: BF8CC07F
	s_barrier                                                  // 000000008F4C: BF8A0000
	v_max3_f32 v123, |v4|, |v5|, v123                          // 000000008F50: D1D3037B 05EE0B04
	v_max3_f32 v123, |v6|, |v7|, v123                          // 000000008F58: D1D3037B 05EE0F06
	v_max3_f32 v123, |v8|, |v9|, v123                          // 000000008F60: D1D3037B 05EE1308
	v_max3_f32 v123, |v10|, |v11|, v123                        // 000000008F68: D1D3037B 05EE170A
	v_max3_f32 v123, |v12|, |v13|, v123                        // 000000008F70: D1D3037B 05EE1B0C
	v_max3_f32 v123, |v14|, |v15|, v123                        // 000000008F78: D1D3037B 05EE1F0E
	v_max3_f32 v123, |v16|, |v17|, v123                        // 000000008F80: D1D3037B 05EE2310
	v_max3_f32 v123, |v18|, |v19|, v123                        // 000000008F88: D1D3037B 05EE2712
	v_rcp_f32_e32 v123, v123                                   // 000000008F90: 7EF6457B
	v_mov_b32_e32 v4, 0x43700000                               // 000000008F94: 7E0802FF 43700000
	v_mul_f32_e32 v123, v4, v123                               // 000000008F9C: 0AF6F704
	v_mov_b32_e32 v4, v123                                     // 000000008FA0: 7E08037B
	v_mov_b32_e32 v5, v4                                       // 000000008FA4: 7E0A0304
	v_pk_mul_f32 v[104:105], v[4:5], v[104:105]                // 000000008FA8: D3B14068 1802D104
	v_pk_mul_f32 v[106:107], v[4:5], v[106:107]                // 000000008FB0: D3B1406A 1802D504
	v_cvt_pk_fp8_f32 v104, v104, v105                          // 000000008FB8: D2A20068 0002D368
	v_cvt_pk_fp8_f32 v104, v106, v107 op_sel:[0,0,1]           // 000000008FC0: D2A24068 0002D76A
	v_pk_mul_f32 v[112:113], v[4:5], v[112:113]                // 000000008FC8: D3B14070 1802E104
	v_pk_mul_f32 v[114:115], v[4:5], v[114:115]                // 000000008FD0: D3B14072 1802E504
	v_cvt_pk_fp8_f32 v112, v112, v113                          // 000000008FD8: D2A20070 0002E370
	v_cvt_pk_fp8_f32 v112, v114, v115 op_sel:[0,0,1]           // 000000008FE0: D2A24070 0002E772
	v_rcp_f32_e32 v123, v123                                   // 000000008FE8: 7EF6457B
	v_lshrrev_b32_e32 v4, 5, v0                                // 000000008FEC: 20080085
	v_mul_lo_u32 v20, 34, v4                                   // 000000008FF0: D2850014 000208A2
	v_and_b32_e32 v4, 31, v0                                   // 000000008FF8: 2608009F
	v_lshrrev_b32_e32 v5, 4, v4                                // 000000008FFC: 200A0884
	v_add_u32_e32 v20, v5, v20                                 // 000000009000: 68282905
	v_and_b32_e32 v4, 15, v0                                   // 000000009004: 2608008F
	v_mul_lo_u32 v5, 2, v4                                     // 000000009008: D2850005 00020882
	v_add_u32_e32 v20, v5, v20                                 // 000000009010: 68282905
	s_mul_i32 s60, s7, 0x44                                    // 000000009014: 923CFF07 00000044
	v_add_u32_e32 v20, s60, v20                                // 00000000901C: 6828283C
	v_lshlrev_b32_e32 v20, 2, v20                              // 000000009020: 24282882
	ds_write_b32 v20, v52                                      // 000000009024: D81A0000 00003414
	ds_write_b32 v20, v56 offset:8704                          // 00000000902C: D81A2200 00003814
	ds_write_b32 v20, v60 offset:1088                          // 000000009034: D81A0440 00003C14
	ds_write_b32 v20, v64 offset:9792                          // 00000000903C: D81A2640 00004014
	ds_write_b32 v20, v68 offset:2176                          // 000000009044: D81A0880 00004414
	ds_write_b32 v20, v72 offset:10880                         // 00000000904C: D81A2A80 00004814
	ds_write_b32 v20, v76 offset:3264                          // 000000009054: D81A0CC0 00004C14
	ds_write_b32 v20, v80 offset:11968                         // 00000000905C: D81A2EC0 00005014
	ds_write_b32 v20, v84 offset:4352                          // 000000009064: D81A1100 00005414
	ds_write_b32 v20, v88 offset:13056                         // 00000000906C: D81A3300 00005814
	ds_write_b32 v20, v92 offset:5440                          // 000000009074: D81A1540 00005C14
	ds_write_b32 v20, v96 offset:14144                         // 00000000907C: D81A3740 00006014
	ds_write_b32 v20, v100 offset:6528                         // 000000009084: D81A1980 00006414
	ds_write_b32 v20, v104 offset:15232                        // 00000000908C: D81A3B80 00006814
	ds_write_b32 v20, v108 offset:7616                         // 000000009094: D81A1DC0 00006C14
	ds_write_b32 v20, v112 offset:16320                        // 00000000909C: D81A3FC0 00007014
	v_lshrrev_b32_e32 v4, 5, v0                                // 0000000090A4: 20080085
	v_xor_b32_e32 v5, 1, v4                                    // 0000000090A8: 2A0A0881
	s_mul_i32 s60, s65, 1                                      // 0000000090AC: 923C8141
	s_cmp_eq_u32 s88, 0                                        // 0000000090B0: BF068058
	s_cselect_b32 s61, 1, 8                                    // 0000000090B4: 853D8881
	s_mul_i32 s60, s61, s60                                    // 0000000090B8: 923C3C3D
	v_readlane_b32 s82, v3, 0                                  // 0000000090BC: D2890052 00010103
	s_lshr_b32 s61, s82, 24                                    // 0000000090C4: 8F3D9852
	s_and_b32 s82, s82, 0xffffff                               // 0000000090C8: 8652FF52 00FFFFFF
	s_mul_i32 s82, s82, s71                                    // 0000000090D0: 92524752
	s_mul_i32 s61, s60, s61                                    // 0000000090D4: 923D3D3C
	s_add_u32 s82, s82, s61                                    // 0000000090D8: 80523D52
	v_mul_lo_u32 v6, v5, s82                                   // 0000000090DC: D2850006 0000A505
	v_readlane_b32 s82, v3, 1                                  // 0000000090E4: D2890052 00010303
	s_lshr_b32 s61, s82, 24                                    // 0000000090EC: 8F3D9852
	s_and_b32 s82, s82, 0xffffff                               // 0000000090F0: 8652FF52 00FFFFFF
	s_mul_i32 s82, s82, s71                                    // 0000000090F8: 92524752
	s_mul_i32 s61, s60, s61                                    // 0000000090FC: 923D3D3C
	s_add_u32 s82, s82, s61                                    // 000000009100: 80523D52
	v_mul_lo_u32 v7, v4, s82                                   // 000000009104: D2850007 0000A504
	v_add_u32_e32 v38, v6, v7                                  // 00000000910C: 684C0F06
	v_readlane_b32 s82, v3, 2                                  // 000000009110: D2890052 00010503
	s_lshr_b32 s61, s82, 24                                    // 000000009118: 8F3D9852
	s_and_b32 s82, s82, 0xffffff                               // 00000000911C: 8652FF52 00FFFFFF
	s_mul_i32 s82, s82, s71                                    // 000000009124: 92524752
	s_mul_i32 s61, s60, s61                                    // 000000009128: 923D3D3C
	s_add_u32 s82, s82, s61                                    // 00000000912C: 80523D52
	v_mul_lo_u32 v6, v5, s82                                   // 000000009130: D2850006 0000A505
	v_readlane_b32 s82, v3, 3                                  // 000000009138: D2890052 00010703
	s_lshr_b32 s61, s82, 24                                    // 000000009140: 8F3D9852
	s_and_b32 s82, s82, 0xffffff                               // 000000009144: 8652FF52 00FFFFFF
	s_mul_i32 s82, s82, s71                                    // 00000000914C: 92524752
	s_mul_i32 s61, s60, s61                                    // 000000009150: 923D3D3C
	s_add_u32 s82, s82, s61                                    // 000000009154: 80523D52
	v_mul_lo_u32 v7, v4, s82                                   // 000000009158: D2850007 0000A504
	v_add_u32_e32 v39, v6, v7                                  // 000000009160: 684E0F06
	v_readlane_b32 s82, v3, 4                                  // 000000009164: D2890052 00010903
	s_lshr_b32 s61, s82, 24                                    // 00000000916C: 8F3D9852
	s_and_b32 s82, s82, 0xffffff                               // 000000009170: 8652FF52 00FFFFFF
	s_mul_i32 s82, s82, s71                                    // 000000009178: 92524752
	s_mul_i32 s61, s60, s61                                    // 00000000917C: 923D3D3C
	s_add_u32 s82, s82, s61                                    // 000000009180: 80523D52
	v_mul_lo_u32 v6, v5, s82                                   // 000000009184: D2850006 0000A505
	v_readlane_b32 s82, v3, 5                                  // 00000000918C: D2890052 00010B03
	s_lshr_b32 s61, s82, 24                                    // 000000009194: 8F3D9852
	s_and_b32 s82, s82, 0xffffff                               // 000000009198: 8652FF52 00FFFFFF
	s_mul_i32 s82, s82, s71                                    // 0000000091A0: 92524752
	s_mul_i32 s61, s60, s61                                    // 0000000091A4: 923D3D3C
	s_add_u32 s82, s82, s61                                    // 0000000091A8: 80523D52
	v_mul_lo_u32 v7, v4, s82                                   // 0000000091AC: D2850007 0000A504
	v_add_u32_e32 v40, v6, v7                                  // 0000000091B4: 68500F06
	v_readlane_b32 s82, v3, 6                                  // 0000000091B8: D2890052 00010D03
	s_lshr_b32 s61, s82, 24                                    // 0000000091C0: 8F3D9852
	s_and_b32 s82, s82, 0xffffff                               // 0000000091C4: 8652FF52 00FFFFFF
	s_mul_i32 s82, s82, s71                                    // 0000000091CC: 92524752
	s_mul_i32 s61, s60, s61                                    // 0000000091D0: 923D3D3C
	s_add_u32 s82, s82, s61                                    // 0000000091D4: 80523D52
	v_mul_lo_u32 v6, v5, s82                                   // 0000000091D8: D2850006 0000A505
	v_readlane_b32 s82, v3, 7                                  // 0000000091E0: D2890052 00010F03
	s_lshr_b32 s61, s82, 24                                    // 0000000091E8: 8F3D9852
	s_and_b32 s82, s82, 0xffffff                               // 0000000091EC: 8652FF52 00FFFFFF
	s_mul_i32 s82, s82, s71                                    // 0000000091F4: 92524752
	s_mul_i32 s61, s60, s61                                    // 0000000091F8: 923D3D3C
	s_add_u32 s82, s82, s61                                    // 0000000091FC: 80523D52
	v_mul_lo_u32 v7, v4, s82                                   // 000000009200: D2850007 0000A504
	v_add_u32_e32 v41, v6, v7                                  // 000000009208: 68520F06
	v_and_b32_e32 v4, 31, v0                                   // 00000000920C: 2608009F
	v_lshrrev_b32_e32 v4, 1, v4                                // 000000009210: 20080881
	s_cmp_eq_u32 s88, 0                                        // 000000009214: BF068058
	s_cselect_b32 s61, 2, 4                                    // 000000009218: 853D8482
	v_mul_lo_u32 v4, v4, s61                                   // 00000000921C: D2850004 00007B04
	v_and_b32_e64 v5, v0, 1                                    // 000000009224: D1130005 00010300
	v_add_u32_e32 v4, v4, v5                                   // 00000000922C: 68080B04
	v_lshlrev_b32_e32 v4, 2, v4                                // 000000009230: 24080882
	v_add_u32_e32 v38, v38, v4                                 // 000000009234: 684C0926
	v_add_u32_e32 v39, v39, v4                                 // 000000009238: 684E0927
	v_add_u32_e32 v40, v40, v4                                 // 00000000923C: 68500928
	v_add_u32_e32 v41, v41, v4                                 // 000000009240: 68520929
	s_waitcnt lgkmcnt(0)                                       // 000000009244: BF8CC07F
	s_barrier                                                  // 000000009248: BF8A0000
	ds_read_b32 v52, v21                                       // 00000000924C: D86C0000 34000015
	ds_read_b32 v53, v21 offset:64                             // 000000009254: D86C0040 35000015
	ds_read_b32 v54, v21 offset:2176                           // 00000000925C: D86C0880 36000015
	ds_read_b32 v55, v21 offset:2240                           // 000000009264: D86C08C0 37000015
	ds_read_b32 v56, v21 offset:4352                           // 00000000926C: D86C1100 38000015
	ds_read_b32 v57, v21 offset:4416                           // 000000009274: D86C1140 39000015
	ds_read_b32 v58, v21 offset:6528                           // 00000000927C: D86C1980 3A000015
	ds_read_b32 v59, v21 offset:6592                           // 000000009284: D86C19C0 3B000015
	ds_read_b32 v60, v21 offset:8704                           // 00000000928C: D86C2200 3C000015
	ds_read_b32 v61, v21 offset:8768                           // 000000009294: D86C2240 3D000015
	ds_read_b32 v62, v21 offset:10880                          // 00000000929C: D86C2A80 3E000015
	ds_read_b32 v63, v21 offset:10944                          // 0000000092A4: D86C2AC0 3F000015
	ds_read_b32 v64, v21 offset:13056                          // 0000000092AC: D86C3300 40000015
	ds_read_b32 v65, v21 offset:13120                          // 0000000092B4: D86C3340 41000015
	ds_read_b32 v66, v21 offset:15232                          // 0000000092BC: D86C3B80 42000015
	ds_read_b32 v67, v21 offset:15296                          // 0000000092C4: D86C3BC0 43000015
	s_waitcnt lgkmcnt(0)                                       // 0000000092CC: BF8CC07F
	s_mov_b32 s36, -1                                          // 0000000092D0: BEA400C1
	s_mov_b32 s37, -1                                          // 0000000092D4: BEA500C1
	v_mov_b32_e32 v7, 0                                        // 0000000092D8: 7E0E0280
	s_or_b32 s9, s9, 0x40000                                   // 0000000092DC: 8709FF09 00040000
	s_mov_b64 exec, s[36:37]                                   // 0000000092E4: BEFE0124
	v_mov_b32_e32 v6, v38                                      // 0000000092E8: 7E0C0326
	s_mov_b64 s[60:61], 0                                      // 0000000092EC: BEBC0180
	v_readlane_b32 s82, v3, 0                                  // 0000000092F0: D2890052 00010103
	s_and_b32 s82, s82, 0xffffff                               // 0000000092F8: 8652FF52 00FFFFFF
	s_cmp_lt_u32 s82, s66                                      // 000000009300: BF0A4252
	s_cselect_b32 s20, s36, s60                                // 000000009304: 85143C24
	v_readlane_b32 s82, v3, 1                                  // 000000009308: D2890052 00010303
	s_and_b32 s82, s82, 0xffffff                               // 000000009310: 8652FF52 00FFFFFF
	s_cmp_lt_u32 s82, s66                                      // 000000009318: BF0A4252
	s_cselect_b32 s21, s36, s60                                // 00000000931C: 85153C24
	s_mov_b64 exec, s[20:21]                                   // 000000009320: BEFE0114
	buffer_store_dword v52, v6, s[8:11], 0 offen               // 000000009324: E0701000 80023406
	buffer_store_dword v54, v6, s[8:11], 0 offen offset:128    // 00000000932C: E0701080 80023606
	buffer_store_dword v56, v6, s[8:11], 0 offen offset:256    // 000000009334: E0701100 80023806
	buffer_store_dword v58, v6, s[8:11], 0 offen offset:384    // 00000000933C: E0701180 80023A06
	s_mov_b64 exec, s[36:37]                                   // 000000009344: BEFE0124
	v_mov_b32_e32 v6, v39                                      // 000000009348: 7E0C0327
	s_mov_b64 s[60:61], 0                                      // 00000000934C: BEBC0180
	v_readlane_b32 s82, v3, 2                                  // 000000009350: D2890052 00010503
	s_and_b32 s82, s82, 0xffffff                               // 000000009358: 8652FF52 00FFFFFF
	s_cmp_lt_u32 s82, s66                                      // 000000009360: BF0A4252
	s_cselect_b32 s20, s36, s60                                // 000000009364: 85143C24
	v_readlane_b32 s82, v3, 3                                  // 000000009368: D2890052 00010703
	s_and_b32 s82, s82, 0xffffff                               // 000000009370: 8652FF52 00FFFFFF
	s_cmp_lt_u32 s82, s66                                      // 000000009378: BF0A4252
	s_cselect_b32 s21, s36, s60                                // 00000000937C: 85153C24
	s_mov_b64 exec, s[20:21]                                   // 000000009380: BEFE0114
	buffer_store_dword v53, v6, s[8:11], 0 offen               // 000000009384: E0701000 80023506
	buffer_store_dword v55, v6, s[8:11], 0 offen offset:128    // 00000000938C: E0701080 80023706
	buffer_store_dword v57, v6, s[8:11], 0 offen offset:256    // 000000009394: E0701100 80023906
	buffer_store_dword v59, v6, s[8:11], 0 offen offset:384    // 00000000939C: E0701180 80023B06
	s_mov_b64 exec, s[36:37]                                   // 0000000093A4: BEFE0124
	v_mov_b32_e32 v6, v40                                      // 0000000093A8: 7E0C0328
	s_mov_b64 s[60:61], 0                                      // 0000000093AC: BEBC0180
	v_readlane_b32 s82, v3, 4                                  // 0000000093B0: D2890052 00010903
	s_and_b32 s82, s82, 0xffffff                               // 0000000093B8: 8652FF52 00FFFFFF
	s_cmp_lt_u32 s82, s66                                      // 0000000093C0: BF0A4252
	s_cselect_b32 s20, s36, s60                                // 0000000093C4: 85143C24
	v_readlane_b32 s82, v3, 5                                  // 0000000093C8: D2890052 00010B03
	s_and_b32 s82, s82, 0xffffff                               // 0000000093D0: 8652FF52 00FFFFFF
	s_cmp_lt_u32 s82, s66                                      // 0000000093D8: BF0A4252
	s_cselect_b32 s21, s36, s60                                // 0000000093DC: 85153C24
	s_mov_b64 exec, s[20:21]                                   // 0000000093E0: BEFE0114
	buffer_store_dword v60, v6, s[8:11], 0 offen               // 0000000093E4: E0701000 80023C06
	buffer_store_dword v62, v6, s[8:11], 0 offen offset:128    // 0000000093EC: E0701080 80023E06
	buffer_store_dword v64, v6, s[8:11], 0 offen offset:256    // 0000000093F4: E0701100 80024006
	buffer_store_dword v66, v6, s[8:11], 0 offen offset:384    // 0000000093FC: E0701180 80024206
	s_mov_b64 exec, s[36:37]                                   // 000000009404: BEFE0124
	v_mov_b32_e32 v6, v41                                      // 000000009408: 7E0C0329
	s_mov_b64 s[60:61], 0                                      // 00000000940C: BEBC0180
	v_readlane_b32 s82, v3, 6                                  // 000000009410: D2890052 00010D03
	s_and_b32 s82, s82, 0xffffff                               // 000000009418: 8652FF52 00FFFFFF
	s_cmp_lt_u32 s82, s66                                      // 000000009420: BF0A4252
	s_cselect_b32 s20, s36, s60                                // 000000009424: 85143C24
	v_readlane_b32 s82, v3, 7                                  // 000000009428: D2890052 00010F03
	s_and_b32 s82, s82, 0xffffff                               // 000000009430: 8652FF52 00FFFFFF
	s_cmp_lt_u32 s82, s66                                      // 000000009438: BF0A4252
	s_cselect_b32 s21, s36, s60                                // 00000000943C: 85153C24
	s_mov_b64 exec, s[20:21]                                   // 000000009440: BEFE0114
	buffer_store_dword v61, v6, s[8:11], 0 offen               // 000000009444: E0701000 80023D06
	buffer_store_dword v63, v6, s[8:11], 0 offen offset:128    // 00000000944C: E0701080 80023F06
	buffer_store_dword v65, v6, s[8:11], 0 offen offset:256    // 000000009454: E0701100 80024106
	buffer_store_dword v67, v6, s[8:11], 0 offen offset:384    // 00000000945C: E0701180 80024306
	s_mov_b64 exec, s[36:37]                                   // 000000009464: BEFE0124
	s_cmp_eq_u32 s7, 0                                         // 000000009468: BF068007
	s_cbranch_scc0 label_3B28                                  // 00000000946C: BF842089
	s_waitcnt vmcnt(16)                                        // 000000009470: BF8C4F70
	s_mov_b32 s8, s90                                          // 000000009474: BE88005A
	s_mov_b32 s9, s91                                          // 000000009478: BE89005B
	s_mul_i32 s60, s66, s71                                    // 00000000947C: 923C4742
	s_add_u32 s8, s60, s8                                      // 000000009480: 8008083C
	s_addc_u32 s9, 0, s9                                       // 000000009484: 82090980
	s_lshr_b32 s71, s71, 5                                     // 000000009488: 8F478547
	s_mul_i32 s60, s66, s71                                    // 00000000948C: 923C4742
	s_mov_b32 s10, s60                                         // 000000009490: BE8A003C
	s_lshr_b32 s61, s65, 5                                     // 000000009494: 8F3D8541
	s_mul_i32 s60, s2, 16                                      // 000000009498: 923C9002
	v_lshrrev_b32_e32 v4, 24, v30                              // 00000000949C: 20083C98
	v_mul_lo_u32 v4, s61, v4                                   // 0000000094A0: D2850004 0002083D
	v_and_b32_e32 v30, 0xffffff, v30                           // 0000000094A8: 263C3CFF 00FFFFFF
	v_mul_lo_u32 v30, s71, v30                                 // 0000000094B0: D285001E 00023C47
	v_add_u32_e32 v30, v4, v30                                 // 0000000094B8: 683C3D04
	v_add_u32_e32 v30, s60, v30                                // 0000000094BC: 683C3C3C
	v_lshrrev_b32_e32 v4, 24, v31                              // 0000000094C0: 20083E98
	v_mul_lo_u32 v4, s61, v4                                   // 0000000094C4: D2850004 0002083D
	v_and_b32_e32 v31, 0xffffff, v31                           // 0000000094CC: 263E3EFF 00FFFFFF
	v_mul_lo_u32 v31, s71, v31                                 // 0000000094D4: D285001F 00023E47
	v_add_u32_e32 v31, v4, v31                                 // 0000000094DC: 683E3F04
	v_add_u32_e32 v31, s60, v31                                // 0000000094E0: 683E3E3C
	s_mov_b64 exec, 0xffff                                     // 0000000094E4: BEFE01FF 0000FFFF
	buffer_store_dword v116, v30, s[8:11], 0 offen             // 0000000094EC: E0701000 8002741E
	buffer_store_dword v118, v30, s[8:11], 0 offen offset:4    // 0000000094F4: E0701004 8002761E
	buffer_store_dword v120, v30, s[8:11], 0 offen offset:8    // 0000000094FC: E0701008 8002781E
	buffer_store_dword v122, v30, s[8:11], 0 offen offset:12   // 000000009504: E070100C 80027A1E
	buffer_store_dword v117, v31, s[8:11], 0 offen             // 00000000950C: E0701000 8002751F
	buffer_store_dword v119, v31, s[8:11], 0 offen offset:4    // 000000009514: E0701004 8002771F
	buffer_store_dword v121, v31, s[8:11], 0 offen offset:8    // 00000000951C: E0701008 8002791F
	buffer_store_dword v123, v31, s[8:11], 0 offen offset:12   // 000000009524: E070100C 80027B1F
	s_mov_b64 exec, s[36:37]                                   // 00000000952C: BEFE0124
	s_branch label_3B28                                        // 000000009530: BF822058

0000000000009534 <label_1ACD>:
	ds_write_b64 v20, v[52:53]                                 // 000000009534: D89A0000 00003414
	ds_write_b64 v20, v[56:57] offset:17408                    // 00000000953C: D89A4400 00003814
	ds_write_b64 v20, v[60:61] offset:2176                     // 000000009544: D89A0880 00003C14
	ds_write_b64 v20, v[64:65] offset:19584                    // 00000000954C: D89A4C80 00004014
	ds_write_b64 v20, v[68:69] offset:4352                     // 000000009554: D89A1100 00004414
	ds_write_b64 v20, v[72:73] offset:21760                    // 00000000955C: D89A5500 00004814
	ds_write_b64 v20, v[76:77] offset:6528                     // 000000009564: D89A1980 00004C14
	ds_write_b64 v20, v[80:81] offset:23936                    // 00000000956C: D89A5D80 00005014
	ds_write_b64 v20, v[84:85] offset:8704                     // 000000009574: D89A2200 00005414
	ds_write_b64 v20, v[88:89] offset:26112                    // 00000000957C: D89A6600 00005814
	ds_write_b64 v20, v[92:93] offset:10880                    // 000000009584: D89A2A80 00005C14
	ds_write_b64 v20, v[96:97] offset:28288                    // 00000000958C: D89A6E80 00006014
	ds_write_b64 v20, v[100:101] offset:13056                  // 000000009594: D89A3300 00006414
	ds_write_b64 v20, v[104:105] offset:30464                  // 00000000959C: D89A7700 00006814
	ds_write_b64 v20, v[108:109] offset:15232                  // 0000000095A4: D89A3B80 00006C14
	ds_write_b64 v20, v[112:113] offset:32640                  // 0000000095AC: D89A7F80 00007014
	v_lshrrev_b32_e32 v4, 5, v0                                // 0000000095B4: 20080085
	v_xor_b32_e32 v5, 1, v4                                    // 0000000095B8: 2A0A0881
	s_mul_i32 s60, s65, 1                                      // 0000000095BC: 923C8141
	s_cmp_eq_u32 s88, 0                                        // 0000000095C0: BF068058
	s_cselect_b32 s61, 1, 8                                    // 0000000095C4: 853D8881
	s_mul_i32 s60, s61, s60                                    // 0000000095C8: 923C3C3D
	v_readlane_b32 s82, v3, 0                                  // 0000000095CC: D2890052 00010103
	s_lshr_b32 s61, s82, 24                                    // 0000000095D4: 8F3D9852
	s_and_b32 s82, s82, 0xffffff                               // 0000000095D8: 8652FF52 00FFFFFF
	s_mul_i32 s82, s82, s71                                    // 0000000095E0: 92524752
	s_mul_i32 s61, s60, s61                                    // 0000000095E4: 923D3D3C
	s_add_u32 s82, s82, s61                                    // 0000000095E8: 80523D52
	v_mul_lo_u32 v6, v5, s82                                   // 0000000095EC: D2850006 0000A505
	v_readlane_b32 s82, v3, 1                                  // 0000000095F4: D2890052 00010303
	s_lshr_b32 s61, s82, 24                                    // 0000000095FC: 8F3D9852
	s_and_b32 s82, s82, 0xffffff                               // 000000009600: 8652FF52 00FFFFFF
	s_mul_i32 s82, s82, s71                                    // 000000009608: 92524752
	s_mul_i32 s61, s60, s61                                    // 00000000960C: 923D3D3C
	s_add_u32 s82, s82, s61                                    // 000000009610: 80523D52
	v_mul_lo_u32 v7, v4, s82                                   // 000000009614: D2850007 0000A504
	v_add_u32_e32 v38, v6, v7                                  // 00000000961C: 684C0F06
	v_readlane_b32 s82, v3, 2                                  // 000000009620: D2890052 00010503
	s_lshr_b32 s61, s82, 24                                    // 000000009628: 8F3D9852
	s_and_b32 s82, s82, 0xffffff                               // 00000000962C: 8652FF52 00FFFFFF
	s_mul_i32 s82, s82, s71                                    // 000000009634: 92524752
	s_mul_i32 s61, s60, s61                                    // 000000009638: 923D3D3C
	s_add_u32 s82, s82, s61                                    // 00000000963C: 80523D52
	v_mul_lo_u32 v6, v5, s82                                   // 000000009640: D2850006 0000A505
	v_readlane_b32 s82, v3, 3                                  // 000000009648: D2890052 00010703
	s_lshr_b32 s61, s82, 24                                    // 000000009650: 8F3D9852
	s_and_b32 s82, s82, 0xffffff                               // 000000009654: 8652FF52 00FFFFFF
	s_mul_i32 s82, s82, s71                                    // 00000000965C: 92524752
	s_mul_i32 s61, s60, s61                                    // 000000009660: 923D3D3C
	s_add_u32 s82, s82, s61                                    // 000000009664: 80523D52
	v_mul_lo_u32 v7, v4, s82                                   // 000000009668: D2850007 0000A504
	v_add_u32_e32 v39, v6, v7                                  // 000000009670: 684E0F06
	v_readlane_b32 s82, v3, 4                                  // 000000009674: D2890052 00010903
	s_lshr_b32 s61, s82, 24                                    // 00000000967C: 8F3D9852
	s_and_b32 s82, s82, 0xffffff                               // 000000009680: 8652FF52 00FFFFFF
	s_mul_i32 s82, s82, s71                                    // 000000009688: 92524752
	s_mul_i32 s61, s60, s61                                    // 00000000968C: 923D3D3C
	s_add_u32 s82, s82, s61                                    // 000000009690: 80523D52
	v_mul_lo_u32 v6, v5, s82                                   // 000000009694: D2850006 0000A505
	v_readlane_b32 s82, v3, 5                                  // 00000000969C: D2890052 00010B03
	s_lshr_b32 s61, s82, 24                                    // 0000000096A4: 8F3D9852
	s_and_b32 s82, s82, 0xffffff                               // 0000000096A8: 8652FF52 00FFFFFF
	s_mul_i32 s82, s82, s71                                    // 0000000096B0: 92524752
	s_mul_i32 s61, s60, s61                                    // 0000000096B4: 923D3D3C
	s_add_u32 s82, s82, s61                                    // 0000000096B8: 80523D52
	v_mul_lo_u32 v7, v4, s82                                   // 0000000096BC: D2850007 0000A504
	v_add_u32_e32 v40, v6, v7                                  // 0000000096C4: 68500F06
	v_readlane_b32 s82, v3, 6                                  // 0000000096C8: D2890052 00010D03
	s_lshr_b32 s61, s82, 24                                    // 0000000096D0: 8F3D9852
	s_and_b32 s82, s82, 0xffffff                               // 0000000096D4: 8652FF52 00FFFFFF
	s_mul_i32 s82, s82, s71                                    // 0000000096DC: 92524752
	s_mul_i32 s61, s60, s61                                    // 0000000096E0: 923D3D3C
	s_add_u32 s82, s82, s61                                    // 0000000096E4: 80523D52
	v_mul_lo_u32 v6, v5, s82                                   // 0000000096E8: D2850006 0000A505
	v_readlane_b32 s82, v3, 7                                  // 0000000096F0: D2890052 00010F03
	s_lshr_b32 s61, s82, 24                                    // 0000000096F8: 8F3D9852
	s_and_b32 s82, s82, 0xffffff                               // 0000000096FC: 8652FF52 00FFFFFF
	s_mul_i32 s82, s82, s71                                    // 000000009704: 92524752
	s_mul_i32 s61, s60, s61                                    // 000000009708: 923D3D3C
	s_add_u32 s82, s82, s61                                    // 00000000970C: 80523D52
	v_mul_lo_u32 v7, v4, s82                                   // 000000009710: D2850007 0000A504
	v_add_u32_e32 v41, v6, v7                                  // 000000009718: 68520F06
	v_and_b32_e32 v4, 31, v0                                   // 00000000971C: 2608009F
	v_lshrrev_b32_e32 v4, 1, v4                                // 000000009720: 20080881
	s_cmp_eq_u32 s88, 0                                        // 000000009724: BF068058
	s_cselect_b32 s61, 2, 4                                    // 000000009728: 853D8482
	v_mul_lo_u32 v4, v4, s61                                   // 00000000972C: D2850004 00007B04
	v_and_b32_e64 v5, v0, 1                                    // 000000009734: D1130005 00010300
	v_add_u32_e32 v4, v4, v5                                   // 00000000973C: 68080B04
	v_lshlrev_b32_e32 v4, 2, v4                                // 000000009740: 24080882
	v_add_u32_e32 v38, v38, v4                                 // 000000009744: 684C0926
	v_add_u32_e32 v39, v39, v4                                 // 000000009748: 684E0927
	v_add_u32_e32 v40, v40, v4                                 // 00000000974C: 68500928
	v_add_u32_e32 v41, v41, v4                                 // 000000009750: 68520929
	s_waitcnt lgkmcnt(0)                                       // 000000009754: BF8CC07F
	s_barrier                                                  // 000000009758: BF8A0000
	ds_read_b32 v52, v21                                       // 00000000975C: D86C0000 34000015
	ds_read_b32 v53, v21 offset:64                             // 000000009764: D86C0040 35000015
	ds_read_b32 v56, v21 offset:2176                           // 00000000976C: D86C0880 38000015
	ds_read_b32 v57, v21 offset:2240                           // 000000009774: D86C08C0 39000015
	ds_read_b32 v60, v21 offset:4352                           // 00000000977C: D86C1100 3C000015
	ds_read_b32 v61, v21 offset:4416                           // 000000009784: D86C1140 3D000015
	ds_read_b32 v64, v21 offset:6528                           // 00000000978C: D86C1980 40000015
	ds_read_b32 v65, v21 offset:6592                           // 000000009794: D86C19C0 41000015
	ds_read_b32 v68, v21 offset:8704                           // 00000000979C: D86C2200 44000015
	ds_read_b32 v69, v21 offset:8768                           // 0000000097A4: D86C2240 45000015
	ds_read_b32 v72, v21 offset:10880                          // 0000000097AC: D86C2A80 48000015
	ds_read_b32 v73, v21 offset:10944                          // 0000000097B4: D86C2AC0 49000015
	ds_read_b32 v76, v21 offset:13056                          // 0000000097BC: D86C3300 4C000015
	ds_read_b32 v77, v21 offset:13120                          // 0000000097C4: D86C3340 4D000015
	ds_read_b32 v80, v21 offset:15232                          // 0000000097CC: D86C3B80 50000015
	ds_read_b32 v81, v21 offset:15296                          // 0000000097D4: D86C3BC0 51000015
	ds_read_b32 v84, v21 offset:17408                          // 0000000097DC: D86C4400 54000015
	ds_read_b32 v85, v21 offset:17472                          // 0000000097E4: D86C4440 55000015
	ds_read_b32 v88, v21 offset:19584                          // 0000000097EC: D86C4C80 58000015
	ds_read_b32 v89, v21 offset:19648                          // 0000000097F4: D86C4CC0 59000015
	ds_read_b32 v92, v21 offset:21760                          // 0000000097FC: D86C5500 5C000015
	ds_read_b32 v93, v21 offset:21824                          // 000000009804: D86C5540 5D000015
	ds_read_b32 v96, v21 offset:23936                          // 00000000980C: D86C5D80 60000015
	ds_read_b32 v97, v21 offset:24000                          // 000000009814: D86C5DC0 61000015
	ds_read_b32 v100, v21 offset:26112                         // 00000000981C: D86C6600 64000015
	ds_read_b32 v101, v21 offset:26176                         // 000000009824: D86C6640 65000015
	ds_read_b32 v104, v21 offset:28288                         // 00000000982C: D86C6E80 68000015
	ds_read_b32 v105, v21 offset:28352                         // 000000009834: D86C6EC0 69000015
	ds_read_b32 v108, v21 offset:30464                         // 00000000983C: D86C7700 6C000015
	ds_read_b32 v109, v21 offset:30528                         // 000000009844: D86C7740 6D000015
	ds_read_b32 v112, v21 offset:32640                         // 00000000984C: D86C7F80 70000015
	ds_read_b32 v113, v21 offset:32704                         // 000000009854: D86C7FC0 71000015
	s_waitcnt lgkmcnt(0)                                       // 00000000985C: BF8CC07F
	s_mov_b32 s36, -1                                          // 000000009860: BEA400C1
	s_mov_b32 s37, -1                                          // 000000009864: BEA500C1
	v_mov_b32_e32 v7, 0                                        // 000000009868: 7E0E0280
	s_mov_b64 exec, s[36:37]                                   // 00000000986C: BEFE0124
	v_mov_b32_e32 v6, v38                                      // 000000009870: 7E0C0326
	s_mov_b64 s[60:61], 0                                      // 000000009874: BEBC0180
	v_readlane_b32 s82, v3, 0                                  // 000000009878: D2890052 00010103
	s_and_b32 s82, s82, 0xffffff                               // 000000009880: 8652FF52 00FFFFFF
	s_cmp_lt_u32 s82, s66                                      // 000000009888: BF0A4252
	s_cselect_b32 s20, s36, s60                                // 00000000988C: 85143C24
	v_readlane_b32 s82, v3, 1                                  // 000000009890: D2890052 00010303
	s_and_b32 s82, s82, 0xffffff                               // 000000009898: 8652FF52 00FFFFFF
	s_cmp_lt_u32 s82, s66                                      // 0000000098A0: BF0A4252
	s_cselect_b32 s21, s36, s60                                // 0000000098A4: 85153C24
	s_mov_b64 exec, s[20:21]                                   // 0000000098A8: BEFE0114
	global_atomic_add_f32 v6, v52, s[8:9]                      // 0000000098AC: DD348000 00083406
	global_atomic_add_f32 v6, v56, s[8:9] offset:256           // 0000000098B4: DD348100 00083806
	global_atomic_add_f32 v6, v60, s[8:9] offset:512           // 0000000098BC: DD348200 00083C06
	global_atomic_add_f32 v6, v64, s[8:9] offset:768           // 0000000098C4: DD348300 00084006
	global_atomic_add_f32 v6, v68, s[8:9] offset:1024          // 0000000098CC: DD348400 00084406
	global_atomic_add_f32 v6, v72, s[8:9] offset:1280          // 0000000098D4: DD348500 00084806
	global_atomic_add_f32 v6, v76, s[8:9] offset:1536          // 0000000098DC: DD348600 00084C06
	global_atomic_add_f32 v6, v80, s[8:9] offset:1792          // 0000000098E4: DD348700 00085006
	s_mov_b64 exec, s[36:37]                                   // 0000000098EC: BEFE0124
	v_mov_b32_e32 v6, v39                                      // 0000000098F0: 7E0C0327
	s_mov_b64 s[60:61], 0                                      // 0000000098F4: BEBC0180
	v_readlane_b32 s82, v3, 2                                  // 0000000098F8: D2890052 00010503
	s_and_b32 s82, s82, 0xffffff                               // 000000009900: 8652FF52 00FFFFFF
	s_cmp_lt_u32 s82, s66                                      // 000000009908: BF0A4252
	s_cselect_b32 s20, s36, s60                                // 00000000990C: 85143C24
	v_readlane_b32 s82, v3, 3                                  // 000000009910: D2890052 00010703
	s_and_b32 s82, s82, 0xffffff                               // 000000009918: 8652FF52 00FFFFFF
	s_cmp_lt_u32 s82, s66                                      // 000000009920: BF0A4252
	s_cselect_b32 s21, s36, s60                                // 000000009924: 85153C24
	s_mov_b64 exec, s[20:21]                                   // 000000009928: BEFE0114
	global_atomic_add_f32 v6, v53, s[8:9]                      // 00000000992C: DD348000 00083506
	global_atomic_add_f32 v6, v57, s[8:9] offset:256           // 000000009934: DD348100 00083906
	global_atomic_add_f32 v6, v61, s[8:9] offset:512           // 00000000993C: DD348200 00083D06
	global_atomic_add_f32 v6, v65, s[8:9] offset:768           // 000000009944: DD348300 00084106
	global_atomic_add_f32 v6, v69, s[8:9] offset:1024          // 00000000994C: DD348400 00084506
	global_atomic_add_f32 v6, v73, s[8:9] offset:1280          // 000000009954: DD348500 00084906
	global_atomic_add_f32 v6, v77, s[8:9] offset:1536          // 00000000995C: DD348600 00084D06
	global_atomic_add_f32 v6, v81, s[8:9] offset:1792          // 000000009964: DD348700 00085106
	s_mov_b64 exec, s[36:37]                                   // 00000000996C: BEFE0124
	v_mov_b32_e32 v6, v40                                      // 000000009970: 7E0C0328
	s_mov_b64 s[60:61], 0                                      // 000000009974: BEBC0180
	v_readlane_b32 s82, v3, 4                                  // 000000009978: D2890052 00010903
	s_and_b32 s82, s82, 0xffffff                               // 000000009980: 8652FF52 00FFFFFF
	s_cmp_lt_u32 s82, s66                                      // 000000009988: BF0A4252
	s_cselect_b32 s20, s36, s60                                // 00000000998C: 85143C24
	v_readlane_b32 s82, v3, 5                                  // 000000009990: D2890052 00010B03
	s_and_b32 s82, s82, 0xffffff                               // 000000009998: 8652FF52 00FFFFFF
	s_cmp_lt_u32 s82, s66                                      // 0000000099A0: BF0A4252
	s_cselect_b32 s21, s36, s60                                // 0000000099A4: 85153C24
	s_mov_b64 exec, s[20:21]                                   // 0000000099A8: BEFE0114
	global_atomic_add_f32 v6, v84, s[8:9]                      // 0000000099AC: DD348000 00085406
	global_atomic_add_f32 v6, v88, s[8:9] offset:256           // 0000000099B4: DD348100 00085806
	global_atomic_add_f32 v6, v92, s[8:9] offset:512           // 0000000099BC: DD348200 00085C06
	global_atomic_add_f32 v6, v96, s[8:9] offset:768           // 0000000099C4: DD348300 00086006
	global_atomic_add_f32 v6, v100, s[8:9] offset:1024         // 0000000099CC: DD348400 00086406
	global_atomic_add_f32 v6, v104, s[8:9] offset:1280         // 0000000099D4: DD348500 00086806
	global_atomic_add_f32 v6, v108, s[8:9] offset:1536         // 0000000099DC: DD348600 00086C06
	global_atomic_add_f32 v6, v112, s[8:9] offset:1792         // 0000000099E4: DD348700 00087006
	s_mov_b64 exec, s[36:37]                                   // 0000000099EC: BEFE0124
	v_mov_b32_e32 v6, v41                                      // 0000000099F0: 7E0C0329
	s_mov_b64 s[60:61], 0                                      // 0000000099F4: BEBC0180
	v_readlane_b32 s82, v3, 6                                  // 0000000099F8: D2890052 00010D03
	s_and_b32 s82, s82, 0xffffff                               // 000000009A00: 8652FF52 00FFFFFF
	s_cmp_lt_u32 s82, s66                                      // 000000009A08: BF0A4252
	s_cselect_b32 s20, s36, s60                                // 000000009A0C: 85143C24
	v_readlane_b32 s82, v3, 7                                  // 000000009A10: D2890052 00010F03
	s_and_b32 s82, s82, 0xffffff                               // 000000009A18: 8652FF52 00FFFFFF
	s_cmp_lt_u32 s82, s66                                      // 000000009A20: BF0A4252
	s_cselect_b32 s21, s36, s60                                // 000000009A24: 85153C24
	s_mov_b64 exec, s[20:21]                                   // 000000009A28: BEFE0114
	global_atomic_add_f32 v6, v85, s[8:9]                      // 000000009A2C: DD348000 00085506
	global_atomic_add_f32 v6, v89, s[8:9] offset:256           // 000000009A34: DD348100 00085906
	global_atomic_add_f32 v6, v93, s[8:9] offset:512           // 000000009A3C: DD348200 00085D06
	global_atomic_add_f32 v6, v97, s[8:9] offset:768           // 000000009A44: DD348300 00086106
	global_atomic_add_f32 v6, v101, s[8:9] offset:1024         // 000000009A4C: DD348400 00086506
	global_atomic_add_f32 v6, v105, s[8:9] offset:1280         // 000000009A54: DD348500 00086906
	global_atomic_add_f32 v6, v109, s[8:9] offset:1536         // 000000009A5C: DD348600 00086D06
	global_atomic_add_f32 v6, v113, s[8:9] offset:1792         // 000000009A64: DD348700 00087106
	s_mov_b64 exec, s[36:37]                                   // 000000009A6C: BEFE0124
	ds_write_b64 v20, v[54:55]                                 // 000000009A70: D89A0000 00003614
	ds_write_b64 v20, v[58:59] offset:17408                    // 000000009A78: D89A4400 00003A14
	ds_write_b64 v20, v[62:63] offset:2176                     // 000000009A80: D89A0880 00003E14
	ds_write_b64 v20, v[66:67] offset:19584                    // 000000009A88: D89A4C80 00004214
	ds_write_b64 v20, v[70:71] offset:4352                     // 000000009A90: D89A1100 00004614
	ds_write_b64 v20, v[74:75] offset:21760                    // 000000009A98: D89A5500 00004A14
	ds_write_b64 v20, v[78:79] offset:6528                     // 000000009AA0: D89A1980 00004E14
	ds_write_b64 v20, v[82:83] offset:23936                    // 000000009AA8: D89A5D80 00005214
	ds_write_b64 v20, v[86:87] offset:8704                     // 000000009AB0: D89A2200 00005614
	ds_write_b64 v20, v[90:91] offset:26112                    // 000000009AB8: D89A6600 00005A14
	ds_write_b64 v20, v[94:95] offset:10880                    // 000000009AC0: D89A2A80 00005E14
	ds_write_b64 v20, v[98:99] offset:28288                    // 000000009AC8: D89A6E80 00006214
	ds_write_b64 v20, v[102:103] offset:13056                  // 000000009AD0: D89A3300 00006614
	ds_write_b64 v20, v[106:107] offset:30464                  // 000000009AD8: D89A7700 00006A14
	ds_write_b64 v20, v[110:111] offset:15232                  // 000000009AE0: D89A3B80 00006E14
	ds_write_b64 v20, v[114:115] offset:32640                  // 000000009AE8: D89A7F80 00007214
	s_waitcnt lgkmcnt(0)                                       // 000000009AF0: BF8CC07F
	s_barrier                                                  // 000000009AF4: BF8A0000
	ds_read_b32 v54, v21                                       // 000000009AF8: D86C0000 36000015
	ds_read_b32 v55, v21 offset:64                             // 000000009B00: D86C0040 37000015
	ds_read_b32 v58, v21 offset:2176                           // 000000009B08: D86C0880 3A000015
	ds_read_b32 v59, v21 offset:2240                           // 000000009B10: D86C08C0 3B000015
	ds_read_b32 v62, v21 offset:4352                           // 000000009B18: D86C1100 3E000015
	ds_read_b32 v63, v21 offset:4416                           // 000000009B20: D86C1140 3F000015
	ds_read_b32 v66, v21 offset:6528                           // 000000009B28: D86C1980 42000015
	ds_read_b32 v67, v21 offset:6592                           // 000000009B30: D86C19C0 43000015
	ds_read_b32 v70, v21 offset:8704                           // 000000009B38: D86C2200 46000015
	ds_read_b32 v71, v21 offset:8768                           // 000000009B40: D86C2240 47000015
	ds_read_b32 v74, v21 offset:10880                          // 000000009B48: D86C2A80 4A000015
	ds_read_b32 v75, v21 offset:10944                          // 000000009B50: D86C2AC0 4B000015
	ds_read_b32 v78, v21 offset:13056                          // 000000009B58: D86C3300 4E000015
	ds_read_b32 v79, v21 offset:13120                          // 000000009B60: D86C3340 4F000015
	ds_read_b32 v82, v21 offset:15232                          // 000000009B68: D86C3B80 52000015
	ds_read_b32 v83, v21 offset:15296                          // 000000009B70: D86C3BC0 53000015
	ds_read_b32 v86, v21 offset:17408                          // 000000009B78: D86C4400 56000015
	ds_read_b32 v87, v21 offset:17472                          // 000000009B80: D86C4440 57000015
	ds_read_b32 v90, v21 offset:19584                          // 000000009B88: D86C4C80 5A000015
	ds_read_b32 v91, v21 offset:19648                          // 000000009B90: D86C4CC0 5B000015
	ds_read_b32 v94, v21 offset:21760                          // 000000009B98: D86C5500 5E000015
	ds_read_b32 v95, v21 offset:21824                          // 000000009BA0: D86C5540 5F000015
	ds_read_b32 v98, v21 offset:23936                          // 000000009BA8: D86C5D80 62000015
	ds_read_b32 v99, v21 offset:24000                          // 000000009BB0: D86C5DC0 63000015
	ds_read_b32 v102, v21 offset:26112                         // 000000009BB8: D86C6600 66000015
	ds_read_b32 v103, v21 offset:26176                         // 000000009BC0: D86C6640 67000015
	ds_read_b32 v106, v21 offset:28288                         // 000000009BC8: D86C6E80 6A000015
	ds_read_b32 v107, v21 offset:28352                         // 000000009BD0: D86C6EC0 6B000015
	ds_read_b32 v110, v21 offset:30464                         // 000000009BD8: D86C7700 6E000015
	ds_read_b32 v111, v21 offset:30528                         // 000000009BE0: D86C7740 6F000015
	ds_read_b32 v114, v21 offset:32640                         // 000000009BE8: D86C7F80 72000015
	ds_read_b32 v115, v21 offset:32704                         // 000000009BF0: D86C7FC0 73000015
	s_waitcnt lgkmcnt(0)                                       // 000000009BF8: BF8CC07F
	v_mov_b32_e32 v7, 0                                        // 000000009BFC: 7E0E0280
	s_mov_b64 exec, s[36:37]                                   // 000000009C00: BEFE0124
	v_mov_b32_e32 v6, v38                                      // 000000009C04: 7E0C0326
	s_mov_b64 s[60:61], 0                                      // 000000009C08: BEBC0180
	v_readlane_b32 s82, v3, 0                                  // 000000009C0C: D2890052 00010103
	s_and_b32 s82, s82, 0xffffff                               // 000000009C14: 8652FF52 00FFFFFF
	s_cmp_lt_u32 s82, s66                                      // 000000009C1C: BF0A4252
	s_cselect_b32 s20, s36, s60                                // 000000009C20: 85143C24
	v_readlane_b32 s82, v3, 1                                  // 000000009C24: D2890052 00010303
	s_and_b32 s82, s82, 0xffffff                               // 000000009C2C: 8652FF52 00FFFFFF
	s_cmp_lt_u32 s82, s66                                      // 000000009C34: BF0A4252
	s_cselect_b32 s21, s36, s60                                // 000000009C38: 85153C24
	s_mov_b64 exec, s[20:21]                                   // 000000009C3C: BEFE0114
	global_atomic_add_f32 v6, v54, s[8:9] offset:8             // 000000009C40: DD348008 00083606
	global_atomic_add_f32 v6, v58, s[8:9] offset:264           // 000000009C48: DD348108 00083A06
	global_atomic_add_f32 v6, v62, s[8:9] offset:520           // 000000009C50: DD348208 00083E06
	global_atomic_add_f32 v6, v66, s[8:9] offset:776           // 000000009C58: DD348308 00084206
	global_atomic_add_f32 v6, v70, s[8:9] offset:1032          // 000000009C60: DD348408 00084606
	global_atomic_add_f32 v6, v74, s[8:9] offset:1288          // 000000009C68: DD348508 00084A06
	global_atomic_add_f32 v6, v78, s[8:9] offset:1544          // 000000009C70: DD348608 00084E06
	global_atomic_add_f32 v6, v82, s[8:9] offset:1800          // 000000009C78: DD348708 00085206
	s_mov_b64 exec, s[36:37]                                   // 000000009C80: BEFE0124
	v_mov_b32_e32 v6, v39                                      // 000000009C84: 7E0C0327
	s_mov_b64 s[60:61], 0                                      // 000000009C88: BEBC0180
	v_readlane_b32 s82, v3, 2                                  // 000000009C8C: D2890052 00010503
	s_and_b32 s82, s82, 0xffffff                               // 000000009C94: 8652FF52 00FFFFFF
	s_cmp_lt_u32 s82, s66                                      // 000000009C9C: BF0A4252
	s_cselect_b32 s20, s36, s60                                // 000000009CA0: 85143C24
	v_readlane_b32 s82, v3, 3                                  // 000000009CA4: D2890052 00010703
	s_and_b32 s82, s82, 0xffffff                               // 000000009CAC: 8652FF52 00FFFFFF
	s_cmp_lt_u32 s82, s66                                      // 000000009CB4: BF0A4252
	s_cselect_b32 s21, s36, s60                                // 000000009CB8: 85153C24
	s_mov_b64 exec, s[20:21]                                   // 000000009CBC: BEFE0114
	global_atomic_add_f32 v6, v55, s[8:9] offset:8             // 000000009CC0: DD348008 00083706
	global_atomic_add_f32 v6, v59, s[8:9] offset:264           // 000000009CC8: DD348108 00083B06
	global_atomic_add_f32 v6, v63, s[8:9] offset:520           // 000000009CD0: DD348208 00083F06
	global_atomic_add_f32 v6, v67, s[8:9] offset:776           // 000000009CD8: DD348308 00084306
	global_atomic_add_f32 v6, v71, s[8:9] offset:1032          // 000000009CE0: DD348408 00084706
	global_atomic_add_f32 v6, v75, s[8:9] offset:1288          // 000000009CE8: DD348508 00084B06
	global_atomic_add_f32 v6, v79, s[8:9] offset:1544          // 000000009CF0: DD348608 00084F06
	global_atomic_add_f32 v6, v83, s[8:9] offset:1800          // 000000009CF8: DD348708 00085306
	s_mov_b64 exec, s[36:37]                                   // 000000009D00: BEFE0124
	v_mov_b32_e32 v6, v40                                      // 000000009D04: 7E0C0328
	s_mov_b64 s[60:61], 0                                      // 000000009D08: BEBC0180
	v_readlane_b32 s82, v3, 4                                  // 000000009D0C: D2890052 00010903
	s_and_b32 s82, s82, 0xffffff                               // 000000009D14: 8652FF52 00FFFFFF
	s_cmp_lt_u32 s82, s66                                      // 000000009D1C: BF0A4252
	s_cselect_b32 s20, s36, s60                                // 000000009D20: 85143C24
	v_readlane_b32 s82, v3, 5                                  // 000000009D24: D2890052 00010B03
	s_and_b32 s82, s82, 0xffffff                               // 000000009D2C: 8652FF52 00FFFFFF
	s_cmp_lt_u32 s82, s66                                      // 000000009D34: BF0A4252
	s_cselect_b32 s21, s36, s60                                // 000000009D38: 85153C24
	s_mov_b64 exec, s[20:21]                                   // 000000009D3C: BEFE0114
	global_atomic_add_f32 v6, v86, s[8:9] offset:8             // 000000009D40: DD348008 00085606
	global_atomic_add_f32 v6, v90, s[8:9] offset:264           // 000000009D48: DD348108 00085A06
	global_atomic_add_f32 v6, v94, s[8:9] offset:520           // 000000009D50: DD348208 00085E06
	global_atomic_add_f32 v6, v98, s[8:9] offset:776           // 000000009D58: DD348308 00086206
	global_atomic_add_f32 v6, v102, s[8:9] offset:1032         // 000000009D60: DD348408 00086606
	global_atomic_add_f32 v6, v106, s[8:9] offset:1288         // 000000009D68: DD348508 00086A06
	global_atomic_add_f32 v6, v110, s[8:9] offset:1544         // 000000009D70: DD348608 00086E06
	global_atomic_add_f32 v6, v114, s[8:9] offset:1800         // 000000009D78: DD348708 00087206
	s_mov_b64 exec, s[36:37]                                   // 000000009D80: BEFE0124
	v_mov_b32_e32 v6, v41                                      // 000000009D84: 7E0C0329
	s_mov_b64 s[60:61], 0                                      // 000000009D88: BEBC0180
	v_readlane_b32 s82, v3, 6                                  // 000000009D8C: D2890052 00010D03
	s_and_b32 s82, s82, 0xffffff                               // 000000009D94: 8652FF52 00FFFFFF
	s_cmp_lt_u32 s82, s66                                      // 000000009D9C: BF0A4252
	s_cselect_b32 s20, s36, s60                                // 000000009DA0: 85143C24
	v_readlane_b32 s82, v3, 7                                  // 000000009DA4: D2890052 00010F03
	s_and_b32 s82, s82, 0xffffff                               // 000000009DAC: 8652FF52 00FFFFFF
	s_cmp_lt_u32 s82, s66                                      // 000000009DB4: BF0A4252
	s_cselect_b32 s21, s36, s60                                // 000000009DB8: 85153C24
	s_mov_b64 exec, s[20:21]                                   // 000000009DBC: BEFE0114
	global_atomic_add_f32 v6, v87, s[8:9] offset:8             // 000000009DC0: DD348008 00085706
	global_atomic_add_f32 v6, v91, s[8:9] offset:264           // 000000009DC8: DD348108 00085B06
	global_atomic_add_f32 v6, v95, s[8:9] offset:520           // 000000009DD0: DD348208 00085F06
	global_atomic_add_f32 v6, v99, s[8:9] offset:776           // 000000009DD8: DD348308 00086306
	global_atomic_add_f32 v6, v103, s[8:9] offset:1032         // 000000009DE0: DD348408 00086706
	global_atomic_add_f32 v6, v107, s[8:9] offset:1288         // 000000009DE8: DD348508 00086B06
	global_atomic_add_f32 v6, v111, s[8:9] offset:1544         // 000000009DF0: DD348608 00086F06
	global_atomic_add_f32 v6, v115, s[8:9] offset:1800         // 000000009DF8: DD348708 00087306
	s_mov_b64 exec, s[36:37]                                   // 000000009E00: BEFE0124
	ds_write_b64 v20, v[116:117]                               // 000000009E04: D89A0000 00007414
	ds_write_b64 v20, v[120:121] offset:17408                  // 000000009E0C: D89A4400 00007814
	ds_write_b64 v20, v[124:125] offset:2176                   // 000000009E14: D89A0880 00007C14
	ds_write_b64 v20, v[128:129] offset:19584                  // 000000009E1C: D89A4C80 00008014
	ds_write_b64 v20, v[132:133] offset:4352                   // 000000009E24: D89A1100 00008414
	ds_write_b64 v20, v[136:137] offset:21760                  // 000000009E2C: D89A5500 00008814
	ds_write_b64 v20, v[140:141] offset:6528                   // 000000009E34: D89A1980 00008C14
	ds_write_b64 v20, v[144:145] offset:23936                  // 000000009E3C: D89A5D80 00009014
	ds_write_b64 v20, v[148:149] offset:8704                   // 000000009E44: D89A2200 00009414
	ds_write_b64 v20, v[152:153] offset:26112                  // 000000009E4C: D89A6600 00009814
	ds_write_b64 v20, v[156:157] offset:10880                  // 000000009E54: D89A2A80 00009C14
	ds_write_b64 v20, v[160:161] offset:28288                  // 000000009E5C: D89A6E80 0000A014
	ds_write_b64 v20, v[164:165] offset:13056                  // 000000009E64: D89A3300 0000A414
	ds_write_b64 v20, v[168:169] offset:30464                  // 000000009E6C: D89A7700 0000A814
	ds_write_b64 v20, v[172:173] offset:15232                  // 000000009E74: D89A3B80 0000AC14
	ds_write_b64 v20, v[176:177] offset:32640                  // 000000009E7C: D89A7F80 0000B014
	s_waitcnt lgkmcnt(0)                                       // 000000009E84: BF8CC07F
	s_barrier                                                  // 000000009E88: BF8A0000
	ds_read_b32 v116, v21                                      // 000000009E8C: D86C0000 74000015
	ds_read_b32 v117, v21 offset:64                            // 000000009E94: D86C0040 75000015
	ds_read_b32 v120, v21 offset:2176                          // 000000009E9C: D86C0880 78000015
	ds_read_b32 v121, v21 offset:2240                          // 000000009EA4: D86C08C0 79000015
	ds_read_b32 v124, v21 offset:4352                          // 000000009EAC: D86C1100 7C000015
	ds_read_b32 v125, v21 offset:4416                          // 000000009EB4: D86C1140 7D000015
	ds_read_b32 v128, v21 offset:6528                          // 000000009EBC: D86C1980 80000015
	ds_read_b32 v129, v21 offset:6592                          // 000000009EC4: D86C19C0 81000015
	ds_read_b32 v132, v21 offset:8704                          // 000000009ECC: D86C2200 84000015
	ds_read_b32 v133, v21 offset:8768                          // 000000009ED4: D86C2240 85000015
	ds_read_b32 v136, v21 offset:10880                         // 000000009EDC: D86C2A80 88000015
	ds_read_b32 v137, v21 offset:10944                         // 000000009EE4: D86C2AC0 89000015
	ds_read_b32 v140, v21 offset:13056                         // 000000009EEC: D86C3300 8C000015
	ds_read_b32 v141, v21 offset:13120                         // 000000009EF4: D86C3340 8D000015
	ds_read_b32 v144, v21 offset:15232                         // 000000009EFC: D86C3B80 90000015
	ds_read_b32 v145, v21 offset:15296                         // 000000009F04: D86C3BC0 91000015
	ds_read_b32 v148, v21 offset:17408                         // 000000009F0C: D86C4400 94000015
	ds_read_b32 v149, v21 offset:17472                         // 000000009F14: D86C4440 95000015
	ds_read_b32 v152, v21 offset:19584                         // 000000009F1C: D86C4C80 98000015
	ds_read_b32 v153, v21 offset:19648                         // 000000009F24: D86C4CC0 99000015
	ds_read_b32 v156, v21 offset:21760                         // 000000009F2C: D86C5500 9C000015
	ds_read_b32 v157, v21 offset:21824                         // 000000009F34: D86C5540 9D000015
	ds_read_b32 v160, v21 offset:23936                         // 000000009F3C: D86C5D80 A0000015
	ds_read_b32 v161, v21 offset:24000                         // 000000009F44: D86C5DC0 A1000015
	ds_read_b32 v164, v21 offset:26112                         // 000000009F4C: D86C6600 A4000015
	ds_read_b32 v165, v21 offset:26176                         // 000000009F54: D86C6640 A5000015
	ds_read_b32 v168, v21 offset:28288                         // 000000009F5C: D86C6E80 A8000015
	ds_read_b32 v169, v21 offset:28352                         // 000000009F64: D86C6EC0 A9000015
	ds_read_b32 v172, v21 offset:30464                         // 000000009F6C: D86C7700 AC000015
	ds_read_b32 v173, v21 offset:30528                         // 000000009F74: D86C7740 AD000015
	ds_read_b32 v176, v21 offset:32640                         // 000000009F7C: D86C7F80 B0000015
	ds_read_b32 v177, v21 offset:32704                         // 000000009F84: D86C7FC0 B1000015
	s_mul_i32 s60, s65, 4                                      // 000000009F8C: 923C8441
	s_add_u32 s8, s60, s8                                      // 000000009F90: 8008083C
	s_addc_u32 s9, 0, s9                                       // 000000009F94: 82090980
	s_waitcnt lgkmcnt(0)                                       // 000000009F98: BF8CC07F
	v_mov_b32_e32 v7, 0                                        // 000000009F9C: 7E0E0280
	s_mov_b64 exec, s[36:37]                                   // 000000009FA0: BEFE0124
	v_mov_b32_e32 v6, v38                                      // 000000009FA4: 7E0C0326
	s_mov_b64 s[60:61], 0                                      // 000000009FA8: BEBC0180
	v_readlane_b32 s82, v3, 0                                  // 000000009FAC: D2890052 00010103
	s_and_b32 s82, s82, 0xffffff                               // 000000009FB4: 8652FF52 00FFFFFF
	s_cmp_lt_u32 s82, s66                                      // 000000009FBC: BF0A4252
	s_cselect_b32 s20, s36, s60                                // 000000009FC0: 85143C24
	v_readlane_b32 s82, v3, 1                                  // 000000009FC4: D2890052 00010303
	s_and_b32 s82, s82, 0xffffff                               // 000000009FCC: 8652FF52 00FFFFFF
	s_cmp_lt_u32 s82, s66                                      // 000000009FD4: BF0A4252
	s_cselect_b32 s21, s36, s60                                // 000000009FD8: 85153C24
	s_mov_b64 exec, s[20:21]                                   // 000000009FDC: BEFE0114
	global_atomic_add_f32 v6, v116, s[8:9]                     // 000000009FE0: DD348000 00087406
	global_atomic_add_f32 v6, v120, s[8:9] offset:256          // 000000009FE8: DD348100 00087806
	global_atomic_add_f32 v6, v124, s[8:9] offset:512          // 000000009FF0: DD348200 00087C06
	global_atomic_add_f32 v6, v128, s[8:9] offset:768          // 000000009FF8: DD348300 00088006
	global_atomic_add_f32 v6, v132, s[8:9] offset:1024         // 00000000A000: DD348400 00088406
	global_atomic_add_f32 v6, v136, s[8:9] offset:1280         // 00000000A008: DD348500 00088806
	global_atomic_add_f32 v6, v140, s[8:9] offset:1536         // 00000000A010: DD348600 00088C06
	global_atomic_add_f32 v6, v144, s[8:9] offset:1792         // 00000000A018: DD348700 00089006
	s_mov_b64 exec, s[36:37]                                   // 00000000A020: BEFE0124
	v_mov_b32_e32 v6, v39                                      // 00000000A024: 7E0C0327
	s_mov_b64 s[60:61], 0                                      // 00000000A028: BEBC0180
	v_readlane_b32 s82, v3, 2                                  // 00000000A02C: D2890052 00010503
	s_and_b32 s82, s82, 0xffffff                               // 00000000A034: 8652FF52 00FFFFFF
	s_cmp_lt_u32 s82, s66                                      // 00000000A03C: BF0A4252
	s_cselect_b32 s20, s36, s60                                // 00000000A040: 85143C24
	v_readlane_b32 s82, v3, 3                                  // 00000000A044: D2890052 00010703
	s_and_b32 s82, s82, 0xffffff                               // 00000000A04C: 8652FF52 00FFFFFF
	s_cmp_lt_u32 s82, s66                                      // 00000000A054: BF0A4252
	s_cselect_b32 s21, s36, s60                                // 00000000A058: 85153C24
	s_mov_b64 exec, s[20:21]                                   // 00000000A05C: BEFE0114
	global_atomic_add_f32 v6, v117, s[8:9]                     // 00000000A060: DD348000 00087506
	global_atomic_add_f32 v6, v121, s[8:9] offset:256          // 00000000A068: DD348100 00087906
	global_atomic_add_f32 v6, v125, s[8:9] offset:512          // 00000000A070: DD348200 00087D06
	global_atomic_add_f32 v6, v129, s[8:9] offset:768          // 00000000A078: DD348300 00088106
	global_atomic_add_f32 v6, v133, s[8:9] offset:1024         // 00000000A080: DD348400 00088506
	global_atomic_add_f32 v6, v137, s[8:9] offset:1280         // 00000000A088: DD348500 00088906
	global_atomic_add_f32 v6, v141, s[8:9] offset:1536         // 00000000A090: DD348600 00088D06
	global_atomic_add_f32 v6, v145, s[8:9] offset:1792         // 00000000A098: DD348700 00089106
	s_mov_b64 exec, s[36:37]                                   // 00000000A0A0: BEFE0124
	v_mov_b32_e32 v6, v40                                      // 00000000A0A4: 7E0C0328
	s_mov_b64 s[60:61], 0                                      // 00000000A0A8: BEBC0180
	v_readlane_b32 s82, v3, 4                                  // 00000000A0AC: D2890052 00010903
	s_and_b32 s82, s82, 0xffffff                               // 00000000A0B4: 8652FF52 00FFFFFF
	s_cmp_lt_u32 s82, s66                                      // 00000000A0BC: BF0A4252
	s_cselect_b32 s20, s36, s60                                // 00000000A0C0: 85143C24
	v_readlane_b32 s82, v3, 5                                  // 00000000A0C4: D2890052 00010B03
	s_and_b32 s82, s82, 0xffffff                               // 00000000A0CC: 8652FF52 00FFFFFF
	s_cmp_lt_u32 s82, s66                                      // 00000000A0D4: BF0A4252
	s_cselect_b32 s21, s36, s60                                // 00000000A0D8: 85153C24
	s_mov_b64 exec, s[20:21]                                   // 00000000A0DC: BEFE0114
	global_atomic_add_f32 v6, v148, s[8:9]                     // 00000000A0E0: DD348000 00089406
	global_atomic_add_f32 v6, v152, s[8:9] offset:256          // 00000000A0E8: DD348100 00089806
	global_atomic_add_f32 v6, v156, s[8:9] offset:512          // 00000000A0F0: DD348200 00089C06
	global_atomic_add_f32 v6, v160, s[8:9] offset:768          // 00000000A0F8: DD348300 0008A006
	global_atomic_add_f32 v6, v164, s[8:9] offset:1024         // 00000000A100: DD348400 0008A406
	global_atomic_add_f32 v6, v168, s[8:9] offset:1280         // 00000000A108: DD348500 0008A806
	global_atomic_add_f32 v6, v172, s[8:9] offset:1536         // 00000000A110: DD348600 0008AC06
	global_atomic_add_f32 v6, v176, s[8:9] offset:1792         // 00000000A118: DD348700 0008B006
	s_mov_b64 exec, s[36:37]                                   // 00000000A120: BEFE0124
	v_mov_b32_e32 v6, v41                                      // 00000000A124: 7E0C0329
	s_mov_b64 s[60:61], 0                                      // 00000000A128: BEBC0180
	v_readlane_b32 s82, v3, 6                                  // 00000000A12C: D2890052 00010D03
	s_and_b32 s82, s82, 0xffffff                               // 00000000A134: 8652FF52 00FFFFFF
	s_cmp_lt_u32 s82, s66                                      // 00000000A13C: BF0A4252
	s_cselect_b32 s20, s36, s60                                // 00000000A140: 85143C24
	v_readlane_b32 s82, v3, 7                                  // 00000000A144: D2890052 00010F03
	s_and_b32 s82, s82, 0xffffff                               // 00000000A14C: 8652FF52 00FFFFFF
	s_cmp_lt_u32 s82, s66                                      // 00000000A154: BF0A4252
	s_cselect_b32 s21, s36, s60                                // 00000000A158: 85153C24
	s_mov_b64 exec, s[20:21]                                   // 00000000A15C: BEFE0114
	global_atomic_add_f32 v6, v149, s[8:9]                     // 00000000A160: DD348000 00089506
	global_atomic_add_f32 v6, v153, s[8:9] offset:256          // 00000000A168: DD348100 00089906
	global_atomic_add_f32 v6, v157, s[8:9] offset:512          // 00000000A170: DD348200 00089D06
	global_atomic_add_f32 v6, v161, s[8:9] offset:768          // 00000000A178: DD348300 0008A106
	global_atomic_add_f32 v6, v165, s[8:9] offset:1024         // 00000000A180: DD348400 0008A506
	global_atomic_add_f32 v6, v169, s[8:9] offset:1280         // 00000000A188: DD348500 0008A906
	global_atomic_add_f32 v6, v173, s[8:9] offset:1536         // 00000000A190: DD348600 0008AD06
	global_atomic_add_f32 v6, v177, s[8:9] offset:1792         // 00000000A198: DD348700 0008B106
	s_mov_b64 exec, s[36:37]                                   // 00000000A1A0: BEFE0124
	ds_write_b64 v20, v[118:119]                               // 00000000A1A4: D89A0000 00007614
	ds_write_b64 v20, v[122:123] offset:17408                  // 00000000A1AC: D89A4400 00007A14
	ds_write_b64 v20, v[126:127] offset:2176                   // 00000000A1B4: D89A0880 00007E14
	ds_write_b64 v20, v[130:131] offset:19584                  // 00000000A1BC: D89A4C80 00008214
	ds_write_b64 v20, v[134:135] offset:4352                   // 00000000A1C4: D89A1100 00008614
	ds_write_b64 v20, v[138:139] offset:21760                  // 00000000A1CC: D89A5500 00008A14
	ds_write_b64 v20, v[142:143] offset:6528                   // 00000000A1D4: D89A1980 00008E14
	ds_write_b64 v20, v[146:147] offset:23936                  // 00000000A1DC: D89A5D80 00009214
	ds_write_b64 v20, v[150:151] offset:8704                   // 00000000A1E4: D89A2200 00009614
	ds_write_b64 v20, v[154:155] offset:26112                  // 00000000A1EC: D89A6600 00009A14
	ds_write_b64 v20, v[158:159] offset:10880                  // 00000000A1F4: D89A2A80 00009E14
	ds_write_b64 v20, v[162:163] offset:28288                  // 00000000A1FC: D89A6E80 0000A214
	ds_write_b64 v20, v[166:167] offset:13056                  // 00000000A204: D89A3300 0000A614
	ds_write_b64 v20, v[170:171] offset:30464                  // 00000000A20C: D89A7700 0000AA14
	ds_write_b64 v20, v[174:175] offset:15232                  // 00000000A214: D89A3B80 0000AE14
	ds_write_b64 v20, v[178:179] offset:32640                  // 00000000A21C: D89A7F80 0000B214
	s_waitcnt lgkmcnt(0)                                       // 00000000A224: BF8CC07F
	s_barrier                                                  // 00000000A228: BF8A0000
	ds_read_b32 v118, v21                                      // 00000000A22C: D86C0000 76000015
	ds_read_b32 v119, v21 offset:64                            // 00000000A234: D86C0040 77000015
	ds_read_b32 v122, v21 offset:2176                          // 00000000A23C: D86C0880 7A000015
	ds_read_b32 v123, v21 offset:2240                          // 00000000A244: D86C08C0 7B000015
	ds_read_b32 v126, v21 offset:4352                          // 00000000A24C: D86C1100 7E000015
	ds_read_b32 v127, v21 offset:4416                          // 00000000A254: D86C1140 7F000015
	ds_read_b32 v130, v21 offset:6528                          // 00000000A25C: D86C1980 82000015
	ds_read_b32 v131, v21 offset:6592                          // 00000000A264: D86C19C0 83000015
	ds_read_b32 v134, v21 offset:8704                          // 00000000A26C: D86C2200 86000015
	ds_read_b32 v135, v21 offset:8768                          // 00000000A274: D86C2240 87000015
	ds_read_b32 v138, v21 offset:10880                         // 00000000A27C: D86C2A80 8A000015
	ds_read_b32 v139, v21 offset:10944                         // 00000000A284: D86C2AC0 8B000015
	ds_read_b32 v142, v21 offset:13056                         // 00000000A28C: D86C3300 8E000015
	ds_read_b32 v143, v21 offset:13120                         // 00000000A294: D86C3340 8F000015
	ds_read_b32 v146, v21 offset:15232                         // 00000000A29C: D86C3B80 92000015
	ds_read_b32 v147, v21 offset:15296                         // 00000000A2A4: D86C3BC0 93000015
	ds_read_b32 v150, v21 offset:17408                         // 00000000A2AC: D86C4400 96000015
	ds_read_b32 v151, v21 offset:17472                         // 00000000A2B4: D86C4440 97000015
	ds_read_b32 v154, v21 offset:19584                         // 00000000A2BC: D86C4C80 9A000015
	ds_read_b32 v155, v21 offset:19648                         // 00000000A2C4: D86C4CC0 9B000015
	ds_read_b32 v158, v21 offset:21760                         // 00000000A2CC: D86C5500 9E000015
	ds_read_b32 v159, v21 offset:21824                         // 00000000A2D4: D86C5540 9F000015
	ds_read_b32 v162, v21 offset:23936                         // 00000000A2DC: D86C5D80 A2000015
	ds_read_b32 v163, v21 offset:24000                         // 00000000A2E4: D86C5DC0 A3000015
	ds_read_b32 v166, v21 offset:26112                         // 00000000A2EC: D86C6600 A6000015
	ds_read_b32 v167, v21 offset:26176                         // 00000000A2F4: D86C6640 A7000015
	ds_read_b32 v170, v21 offset:28288                         // 00000000A2FC: D86C6E80 AA000015
	ds_read_b32 v171, v21 offset:28352                         // 00000000A304: D86C6EC0 AB000015
	ds_read_b32 v174, v21 offset:30464                         // 00000000A30C: D86C7700 AE000015
	ds_read_b32 v175, v21 offset:30528                         // 00000000A314: D86C7740 AF000015
	ds_read_b32 v178, v21 offset:32640                         // 00000000A31C: D86C7F80 B2000015
	ds_read_b32 v179, v21 offset:32704                         // 00000000A324: D86C7FC0 B3000015
	s_waitcnt lgkmcnt(0)                                       // 00000000A32C: BF8CC07F
	v_mov_b32_e32 v7, 0                                        // 00000000A330: 7E0E0280
	s_mov_b64 exec, s[36:37]                                   // 00000000A334: BEFE0124
	v_mov_b32_e32 v6, v38                                      // 00000000A338: 7E0C0326
	s_mov_b64 s[60:61], 0                                      // 00000000A33C: BEBC0180
	v_readlane_b32 s82, v3, 0                                  // 00000000A340: D2890052 00010103
	s_and_b32 s82, s82, 0xffffff                               // 00000000A348: 8652FF52 00FFFFFF
	s_cmp_lt_u32 s82, s66                                      // 00000000A350: BF0A4252
	s_cselect_b32 s20, s36, s60                                // 00000000A354: 85143C24
	v_readlane_b32 s82, v3, 1                                  // 00000000A358: D2890052 00010303
	s_and_b32 s82, s82, 0xffffff                               // 00000000A360: 8652FF52 00FFFFFF
	s_cmp_lt_u32 s82, s66                                      // 00000000A368: BF0A4252
	s_cselect_b32 s21, s36, s60                                // 00000000A36C: 85153C24
	s_mov_b64 exec, s[20:21]                                   // 00000000A370: BEFE0114
	global_atomic_add_f32 v6, v118, s[8:9] offset:8            // 00000000A374: DD348008 00087606
	global_atomic_add_f32 v6, v122, s[8:9] offset:264          // 00000000A37C: DD348108 00087A06
	global_atomic_add_f32 v6, v126, s[8:9] offset:520          // 00000000A384: DD348208 00087E06
	global_atomic_add_f32 v6, v130, s[8:9] offset:776          // 00000000A38C: DD348308 00088206
	global_atomic_add_f32 v6, v134, s[8:9] offset:1032         // 00000000A394: DD348408 00088606
	global_atomic_add_f32 v6, v138, s[8:9] offset:1288         // 00000000A39C: DD348508 00088A06
	global_atomic_add_f32 v6, v142, s[8:9] offset:1544         // 00000000A3A4: DD348608 00088E06
	global_atomic_add_f32 v6, v146, s[8:9] offset:1800         // 00000000A3AC: DD348708 00089206
	s_mov_b64 exec, s[36:37]                                   // 00000000A3B4: BEFE0124
	v_mov_b32_e32 v6, v39                                      // 00000000A3B8: 7E0C0327
	s_mov_b64 s[60:61], 0                                      // 00000000A3BC: BEBC0180
	v_readlane_b32 s82, v3, 2                                  // 00000000A3C0: D2890052 00010503
	s_and_b32 s82, s82, 0xffffff                               // 00000000A3C8: 8652FF52 00FFFFFF
	s_cmp_lt_u32 s82, s66                                      // 00000000A3D0: BF0A4252
	s_cselect_b32 s20, s36, s60                                // 00000000A3D4: 85143C24
	v_readlane_b32 s82, v3, 3                                  // 00000000A3D8: D2890052 00010703
	s_and_b32 s82, s82, 0xffffff                               // 00000000A3E0: 8652FF52 00FFFFFF
	s_cmp_lt_u32 s82, s66                                      // 00000000A3E8: BF0A4252
	s_cselect_b32 s21, s36, s60                                // 00000000A3EC: 85153C24
	s_mov_b64 exec, s[20:21]                                   // 00000000A3F0: BEFE0114
	global_atomic_add_f32 v6, v119, s[8:9] offset:8            // 00000000A3F4: DD348008 00087706
	global_atomic_add_f32 v6, v123, s[8:9] offset:264          // 00000000A3FC: DD348108 00087B06
	global_atomic_add_f32 v6, v127, s[8:9] offset:520          // 00000000A404: DD348208 00087F06
	global_atomic_add_f32 v6, v131, s[8:9] offset:776          // 00000000A40C: DD348308 00088306
	global_atomic_add_f32 v6, v135, s[8:9] offset:1032         // 00000000A414: DD348408 00088706
	global_atomic_add_f32 v6, v139, s[8:9] offset:1288         // 00000000A41C: DD348508 00088B06
	global_atomic_add_f32 v6, v143, s[8:9] offset:1544         // 00000000A424: DD348608 00088F06
	global_atomic_add_f32 v6, v147, s[8:9] offset:1800         // 00000000A42C: DD348708 00089306
	s_mov_b64 exec, s[36:37]                                   // 00000000A434: BEFE0124
	v_mov_b32_e32 v6, v40                                      // 00000000A438: 7E0C0328
	s_mov_b64 s[60:61], 0                                      // 00000000A43C: BEBC0180
	v_readlane_b32 s82, v3, 4                                  // 00000000A440: D2890052 00010903
	s_and_b32 s82, s82, 0xffffff                               // 00000000A448: 8652FF52 00FFFFFF
	s_cmp_lt_u32 s82, s66                                      // 00000000A450: BF0A4252
	s_cselect_b32 s20, s36, s60                                // 00000000A454: 85143C24
	v_readlane_b32 s82, v3, 5                                  // 00000000A458: D2890052 00010B03
	s_and_b32 s82, s82, 0xffffff                               // 00000000A460: 8652FF52 00FFFFFF
	s_cmp_lt_u32 s82, s66                                      // 00000000A468: BF0A4252
	s_cselect_b32 s21, s36, s60                                // 00000000A46C: 85153C24
	s_mov_b64 exec, s[20:21]                                   // 00000000A470: BEFE0114
	global_atomic_add_f32 v6, v150, s[8:9] offset:8            // 00000000A474: DD348008 00089606
	global_atomic_add_f32 v6, v154, s[8:9] offset:264          // 00000000A47C: DD348108 00089A06
	global_atomic_add_f32 v6, v158, s[8:9] offset:520          // 00000000A484: DD348208 00089E06
	global_atomic_add_f32 v6, v162, s[8:9] offset:776          // 00000000A48C: DD348308 0008A206
	global_atomic_add_f32 v6, v166, s[8:9] offset:1032         // 00000000A494: DD348408 0008A606
	global_atomic_add_f32 v6, v170, s[8:9] offset:1288         // 00000000A49C: DD348508 0008AA06
	global_atomic_add_f32 v6, v174, s[8:9] offset:1544         // 00000000A4A4: DD348608 0008AE06
	global_atomic_add_f32 v6, v178, s[8:9] offset:1800         // 00000000A4AC: DD348708 0008B206
	s_mov_b64 exec, s[36:37]                                   // 00000000A4B4: BEFE0124
	v_mov_b32_e32 v6, v41                                      // 00000000A4B8: 7E0C0329
	s_mov_b64 s[60:61], 0                                      // 00000000A4BC: BEBC0180
	v_readlane_b32 s82, v3, 6                                  // 00000000A4C0: D2890052 00010D03
	s_and_b32 s82, s82, 0xffffff                               // 00000000A4C8: 8652FF52 00FFFFFF
	s_cmp_lt_u32 s82, s66                                      // 00000000A4D0: BF0A4252
	s_cselect_b32 s20, s36, s60                                // 00000000A4D4: 85143C24
	v_readlane_b32 s82, v3, 7                                  // 00000000A4D8: D2890052 00010F03
	s_and_b32 s82, s82, 0xffffff                               // 00000000A4E0: 8652FF52 00FFFFFF
	s_cmp_lt_u32 s82, s66                                      // 00000000A4E8: BF0A4252
	s_cselect_b32 s21, s36, s60                                // 00000000A4EC: 85153C24
	s_mov_b64 exec, s[20:21]                                   // 00000000A4F0: BEFE0114
	global_atomic_add_f32 v6, v151, s[8:9] offset:8            // 00000000A4F4: DD348008 00089706
	global_atomic_add_f32 v6, v155, s[8:9] offset:264          // 00000000A4FC: DD348108 00089B06
	global_atomic_add_f32 v6, v159, s[8:9] offset:520          // 00000000A504: DD348208 00089F06
	global_atomic_add_f32 v6, v163, s[8:9] offset:776          // 00000000A50C: DD348308 0008A306
	global_atomic_add_f32 v6, v167, s[8:9] offset:1032         // 00000000A514: DD348408 0008A706
	global_atomic_add_f32 v6, v171, s[8:9] offset:1288         // 00000000A51C: DD348508 0008AB06
	global_atomic_add_f32 v6, v175, s[8:9] offset:1544         // 00000000A524: DD348608 0008AF06
	global_atomic_add_f32 v6, v179, s[8:9] offset:1800         // 00000000A52C: DD348708 0008B306
	s_mov_b64 exec, s[36:37]                                   // 00000000A534: BEFE0124
	s_branch label_3B28                                        // 00000000A538: BF821C56

000000000000a53c <label_1ED2>:
	s_waitcnt vmcnt(23) lgkmcnt(0)                             // 00000000A53C: BF8C4077
	v_mul_f32_dpp v4, v24, v32 row_newbcast:0 row_mask:0xf bank_mask:0xf// 00000000A540: 0A0840FA FF015018
	v_mfma_f32_16x16x32_fp8_fp8 v[8:11], a[32:33], a[0:1], 0   // 00000000A548: D3F30008 1A020120
	buffer_load_dword v25, v22, s[32:35], 0 offen              // 00000000A550: E0501000 80081916
	buffer_load_dwordx4 a[160:163], v42, s[24:27], 0 offen     // 00000000A558: E05C1000 8086A02A
	v_mfma_f32_16x16x32_fp8_fp8 v[8:11], a[34:35], a[2:3], v[8:11]// 00000000A560: D3F30008 1C220522
	v_mfma_f32_16x16x32_fp8_fp8 v[8:11], a[36:37], a[4:5], v[8:11]// 00000000A568: D3F30008 1C220924
	v_mfma_f32_16x16x32_fp8_fp8 v[8:11], a[38:39], a[6:7], v[8:11]// 00000000A570: D3F30008 1C220D26
	v_mfma_f32_16x16x32_fp8_fp8 v[12:15], a[40:41], a[0:1], 0  // 00000000A578: D3F3000C 1A020128
	buffer_load_dwordx4 a[164:167], v42, s[24:27], 0 offen offset:1024// 00000000A580: E05C1400 8086A42A
	v_mfma_f32_16x16x32_fp8_fp8 v[12:15], a[42:43], a[2:3], v[12:15]// 00000000A588: D3F3000C 1C32052A
	v_mfma_f32_16x16x32_fp8_fp8 v[12:15], a[44:45], a[4:5], v[12:15]// 00000000A590: D3F3000C 1C32092C
	v_mfma_f32_16x16x32_fp8_fp8 v[12:15], a[46:47], a[6:7], v[12:15]// 00000000A598: D3F3000C 1C320D2E
	v_fma_f32 v52, v8, v4, v52                                 // 00000000A5A0: D1CB0034 04D20908
	v_fma_f32 v53, v9, v4, v53                                 // 00000000A5A8: D1CB0035 04D60909
	v_fma_f32 v54, v10, v4, v54                                // 00000000A5B0: D1CB0036 04DA090A
	v_fma_f32 v55, v11, v4, v55                                // 00000000A5B8: D1CB0037 04DE090B
	v_mul_f32_dpp v6, v24, v32 row_newbcast:1 row_mask:0xf bank_mask:0xf// 00000000A5C0: 0A0C40FA FF015118
	v_mfma_f32_16x16x32_fp8_fp8 v[8:11], a[48:49], a[0:1], 0   // 00000000A5C8: D3F30008 1A020130
	buffer_load_dwordx4 a[168:171], v43, s[24:27], 0 offen     // 00000000A5D0: E05C1000 8086A82B
	v_mfma_f32_16x16x32_fp8_fp8 v[8:11], a[50:51], a[2:3], v[8:11]// 00000000A5D8: D3F30008 1C220532
	v_mfma_f32_16x16x32_fp8_fp8 v[8:11], a[52:53], a[4:5], v[8:11]// 00000000A5E0: D3F30008 1C220934
	v_mfma_f32_16x16x32_fp8_fp8 v[8:11], a[54:55], a[6:7], v[8:11]// 00000000A5E8: D3F30008 1C220D36
	v_fma_f32 v60, v12, v4, v60                                // 00000000A5F0: D1CB003C 04F2090C
	v_fma_f32 v61, v13, v4, v61                                // 00000000A5F8: D1CB003D 04F6090D
	v_fma_f32 v62, v14, v4, v62                                // 00000000A600: D1CB003E 04FA090E
	v_fma_f32 v63, v15, v4, v63                                // 00000000A608: D1CB003F 04FE090F
	v_mfma_f32_16x16x32_fp8_fp8 v[12:15], a[56:57], a[0:1], 0  // 00000000A610: D3F3000C 1A020138
	buffer_load_dwordx4 a[172:175], v43, s[24:27], 0 offen offset:1024// 00000000A618: E05C1400 8086AC2B
	v_mfma_f32_16x16x32_fp8_fp8 v[12:15], a[58:59], a[2:3], v[12:15]// 00000000A620: D3F3000C 1C32053A
	v_mfma_f32_16x16x32_fp8_fp8 v[12:15], a[60:61], a[4:5], v[12:15]// 00000000A628: D3F3000C 1C32093C
	v_mfma_f32_16x16x32_fp8_fp8 v[12:15], a[62:63], a[6:7], v[12:15]// 00000000A630: D3F3000C 1C320D3E
	v_fma_f32 v68, v8, v6, v68                                 // 00000000A638: D1CB0044 05120D08
	v_fma_f32 v69, v9, v6, v69                                 // 00000000A640: D1CB0045 05160D09
	v_fma_f32 v70, v10, v6, v70                                // 00000000A648: D1CB0046 051A0D0A
	v_fma_f32 v71, v11, v6, v71                                // 00000000A650: D1CB0047 051E0D0B
	v_mul_f32_dpp v4, v24, v32 row_newbcast:2 row_mask:0xf bank_mask:0xf// 00000000A658: 0A0840FA FF015218
	v_mfma_f32_16x16x32_fp8_fp8 v[8:11], a[64:65], a[0:1], 0   // 00000000A660: D3F30008 1A020140
	buffer_load_dwordx4 a[176:179], v44, s[24:27], 0 offen     // 00000000A668: E05C1000 8086B02C
	v_mfma_f32_16x16x32_fp8_fp8 v[8:11], a[66:67], a[2:3], v[8:11]// 00000000A670: D3F30008 1C220542
	v_mfma_f32_16x16x32_fp8_fp8 v[8:11], a[68:69], a[4:5], v[8:11]// 00000000A678: D3F30008 1C220944
	v_mfma_f32_16x16x32_fp8_fp8 v[8:11], a[70:71], a[6:7], v[8:11]// 00000000A680: D3F30008 1C220D46
	v_fma_f32 v76, v12, v6, v76                                // 00000000A688: D1CB004C 05320D0C
	v_fma_f32 v77, v13, v6, v77                                // 00000000A690: D1CB004D 05360D0D
	v_fma_f32 v78, v14, v6, v78                                // 00000000A698: D1CB004E 053A0D0E
	v_fma_f32 v79, v15, v6, v79                                // 00000000A6A0: D1CB004F 053E0D0F
	v_mfma_f32_16x16x32_fp8_fp8 v[12:15], a[72:73], a[0:1], 0  // 00000000A6A8: D3F3000C 1A020148
	buffer_load_dwordx4 a[180:183], v44, s[24:27], 0 offen offset:1024// 00000000A6B0: E05C1400 8086B42C
	v_mfma_f32_16x16x32_fp8_fp8 v[12:15], a[74:75], a[2:3], v[12:15]// 00000000A6B8: D3F3000C 1C32054A
	v_mfma_f32_16x16x32_fp8_fp8 v[12:15], a[76:77], a[4:5], v[12:15]// 00000000A6C0: D3F3000C 1C32094C
	v_mfma_f32_16x16x32_fp8_fp8 v[12:15], a[78:79], a[6:7], v[12:15]// 00000000A6C8: D3F3000C 1C320D4E
	v_fma_f32 v84, v8, v4, v84                                 // 00000000A6D0: D1CB0054 05520908
	v_fma_f32 v85, v9, v4, v85                                 // 00000000A6D8: D1CB0055 05560909
	v_fma_f32 v86, v10, v4, v86                                // 00000000A6E0: D1CB0056 055A090A
	v_fma_f32 v87, v11, v4, v87                                // 00000000A6E8: D1CB0057 055E090B
	v_mul_f32_dpp v6, v24, v32 row_newbcast:3 row_mask:0xf bank_mask:0xf// 00000000A6F0: 0A0C40FA FF015318
	v_mfma_f32_16x16x32_fp8_fp8 v[8:11], a[80:81], a[0:1], 0   // 00000000A6F8: D3F30008 1A020150
	buffer_load_dwordx4 a[184:187], v45, s[24:27], 0 offen     // 00000000A700: E05C1000 8086B82D
	v_mfma_f32_16x16x32_fp8_fp8 v[8:11], a[82:83], a[2:3], v[8:11]// 00000000A708: D3F30008 1C220552
	v_mfma_f32_16x16x32_fp8_fp8 v[8:11], a[84:85], a[4:5], v[8:11]// 00000000A710: D3F30008 1C220954
	v_mfma_f32_16x16x32_fp8_fp8 v[8:11], a[86:87], a[6:7], v[8:11]// 00000000A718: D3F30008 1C220D56
	v_fma_f32 v92, v12, v4, v92                                // 00000000A720: D1CB005C 0572090C
	v_fma_f32 v93, v13, v4, v93                                // 00000000A728: D1CB005D 0576090D
	v_fma_f32 v94, v14, v4, v94                                // 00000000A730: D1CB005E 057A090E
	v_fma_f32 v95, v15, v4, v95                                // 00000000A738: D1CB005F 057E090F
	v_mfma_f32_16x16x32_fp8_fp8 v[12:15], a[88:89], a[0:1], 0  // 00000000A740: D3F3000C 1A020158
	buffer_load_dwordx4 a[188:191], v45, s[24:27], 0 offen offset:1024// 00000000A748: E05C1400 8086BC2D
	v_mfma_f32_16x16x32_fp8_fp8 v[12:15], a[90:91], a[2:3], v[12:15]// 00000000A750: D3F3000C 1C32055A
	v_mfma_f32_16x16x32_fp8_fp8 v[12:15], a[92:93], a[4:5], v[12:15]// 00000000A758: D3F3000C 1C32095C
	v_mfma_f32_16x16x32_fp8_fp8 v[12:15], a[94:95], a[6:7], v[12:15]// 00000000A760: D3F3000C 1C320D5E
	v_fma_f32 v100, v8, v6, v100                               // 00000000A768: D1CB0064 05920D08
	v_fma_f32 v101, v9, v6, v101                               // 00000000A770: D1CB0065 05960D09
	v_fma_f32 v102, v10, v6, v102                              // 00000000A778: D1CB0066 059A0D0A
	v_fma_f32 v103, v11, v6, v103                              // 00000000A780: D1CB0067 059E0D0B
	v_mul_f32_dpp v4, v24, v33 row_newbcast:0 row_mask:0xf bank_mask:0xf// 00000000A788: 0A0842FA FF015018
	v_mfma_f32_16x16x32_fp8_fp8 v[8:11], a[32:33], a[8:9], 0   // 00000000A790: D3F30008 1A021120
	buffer_load_dwordx4 a[192:195], v46, s[24:27], 0 offen     // 00000000A798: E05C1000 8086C02E
	v_mfma_f32_16x16x32_fp8_fp8 v[8:11], a[34:35], a[10:11], v[8:11]// 00000000A7A0: D3F30008 1C221522
	v_mfma_f32_16x16x32_fp8_fp8 v[8:11], a[36:37], a[12:13], v[8:11]// 00000000A7A8: D3F30008 1C221924
	v_mfma_f32_16x16x32_fp8_fp8 v[8:11], a[38:39], a[14:15], v[8:11]// 00000000A7B0: D3F30008 1C221D26
	v_fma_f32 v108, v12, v6, v108                              // 00000000A7B8: D1CB006C 05B20D0C
	v_fma_f32 v109, v13, v6, v109                              // 00000000A7C0: D1CB006D 05B60D0D
	v_fma_f32 v110, v14, v6, v110                              // 00000000A7C8: D1CB006E 05BA0D0E
	v_fma_f32 v111, v15, v6, v111                              // 00000000A7D0: D1CB006F 05BE0D0F
	v_mfma_f32_16x16x32_fp8_fp8 v[12:15], a[40:41], a[8:9], 0  // 00000000A7D8: D3F3000C 1A021128
	buffer_load_dwordx4 a[196:199], v46, s[24:27], 0 offen offset:1024// 00000000A7E0: E05C1400 8086C42E
	v_mfma_f32_16x16x32_fp8_fp8 v[12:15], a[42:43], a[10:11], v[12:15]// 00000000A7E8: D3F3000C 1C32152A
	v_mfma_f32_16x16x32_fp8_fp8 v[12:15], a[44:45], a[12:13], v[12:15]// 00000000A7F0: D3F3000C 1C32192C
	v_mfma_f32_16x16x32_fp8_fp8 v[12:15], a[46:47], a[14:15], v[12:15]// 00000000A7F8: D3F3000C 1C321D2E
	v_fma_f32 v56, v8, v4, v56                                 // 00000000A800: D1CB0038 04E20908
	v_fma_f32 v57, v9, v4, v57                                 // 00000000A808: D1CB0039 04E60909
	v_fma_f32 v58, v10, v4, v58                                // 00000000A810: D1CB003A 04EA090A
	v_fma_f32 v59, v11, v4, v59                                // 00000000A818: D1CB003B 04EE090B
	v_mul_f32_dpp v6, v24, v33 row_newbcast:1 row_mask:0xf bank_mask:0xf// 00000000A820: 0A0C42FA FF015118
	v_mfma_f32_16x16x32_fp8_fp8 v[8:11], a[48:49], a[8:9], 0   // 00000000A828: D3F30008 1A021130
	buffer_load_dwordx4 a[200:203], v47, s[24:27], 0 offen     // 00000000A830: E05C1000 8086C82F
	v_mfma_f32_16x16x32_fp8_fp8 v[8:11], a[50:51], a[10:11], v[8:11]// 00000000A838: D3F30008 1C221532
	v_mfma_f32_16x16x32_fp8_fp8 v[8:11], a[52:53], a[12:13], v[8:11]// 00000000A840: D3F30008 1C221934
	v_mfma_f32_16x16x32_fp8_fp8 v[8:11], a[54:55], a[14:15], v[8:11]// 00000000A848: D3F30008 1C221D36
	v_fma_f32 v64, v12, v4, v64                                // 00000000A850: D1CB0040 0502090C
	v_fma_f32 v65, v13, v4, v65                                // 00000000A858: D1CB0041 0506090D
	v_fma_f32 v66, v14, v4, v66                                // 00000000A860: D1CB0042 050A090E
	v_fma_f32 v67, v15, v4, v67                                // 00000000A868: D1CB0043 050E090F
	v_mfma_f32_16x16x32_fp8_fp8 v[12:15], a[56:57], a[8:9], 0  // 00000000A870: D3F3000C 1A021138
	buffer_load_dwordx4 a[204:207], v47, s[24:27], 0 offen offset:1024// 00000000A878: E05C1400 8086CC2F
	v_mfma_f32_16x16x32_fp8_fp8 v[12:15], a[58:59], a[10:11], v[12:15]// 00000000A880: D3F3000C 1C32153A
	v_mfma_f32_16x16x32_fp8_fp8 v[12:15], a[60:61], a[12:13], v[12:15]// 00000000A888: D3F3000C 1C32193C
	v_mfma_f32_16x16x32_fp8_fp8 v[12:15], a[62:63], a[14:15], v[12:15]// 00000000A890: D3F3000C 1C321D3E
	v_fma_f32 v72, v8, v6, v72                                 // 00000000A898: D1CB0048 05220D08
	v_fma_f32 v73, v9, v6, v73                                 // 00000000A8A0: D1CB0049 05260D09
	v_fma_f32 v74, v10, v6, v74                                // 00000000A8A8: D1CB004A 052A0D0A
	v_fma_f32 v75, v11, v6, v75                                // 00000000A8B0: D1CB004B 052E0D0B
	v_mul_f32_dpp v4, v24, v33 row_newbcast:2 row_mask:0xf bank_mask:0xf// 00000000A8B8: 0A0842FA FF015218
	v_mfma_f32_16x16x32_fp8_fp8 v[8:11], a[64:65], a[8:9], 0   // 00000000A8C0: D3F30008 1A021140
	buffer_load_dwordx4 a[208:211], v48, s[24:27], 0 offen     // 00000000A8C8: E05C1000 8086D030
	v_mfma_f32_16x16x32_fp8_fp8 v[8:11], a[66:67], a[10:11], v[8:11]// 00000000A8D0: D3F30008 1C221542
	v_mfma_f32_16x16x32_fp8_fp8 v[8:11], a[68:69], a[12:13], v[8:11]// 00000000A8D8: D3F30008 1C221944
	v_mfma_f32_16x16x32_fp8_fp8 v[8:11], a[70:71], a[14:15], v[8:11]// 00000000A8E0: D3F30008 1C221D46
	v_fma_f32 v80, v12, v6, v80                                // 00000000A8E8: D1CB0050 05420D0C
	v_fma_f32 v81, v13, v6, v81                                // 00000000A8F0: D1CB0051 05460D0D
	v_fma_f32 v82, v14, v6, v82                                // 00000000A8F8: D1CB0052 054A0D0E
	v_fma_f32 v83, v15, v6, v83                                // 00000000A900: D1CB0053 054E0D0F
	v_mfma_f32_16x16x32_fp8_fp8 v[12:15], a[72:73], a[8:9], 0  // 00000000A908: D3F3000C 1A021148
	buffer_load_dwordx4 a[212:215], v48, s[24:27], 0 offen offset:1024// 00000000A910: E05C1400 8086D430
	v_mfma_f32_16x16x32_fp8_fp8 v[12:15], a[74:75], a[10:11], v[12:15]// 00000000A918: D3F3000C 1C32154A
	v_mfma_f32_16x16x32_fp8_fp8 v[12:15], a[76:77], a[12:13], v[12:15]// 00000000A920: D3F3000C 1C32194C
	v_mfma_f32_16x16x32_fp8_fp8 v[12:15], a[78:79], a[14:15], v[12:15]// 00000000A928: D3F3000C 1C321D4E
	v_fma_f32 v88, v8, v4, v88                                 // 00000000A930: D1CB0058 05620908
	v_fma_f32 v89, v9, v4, v89                                 // 00000000A938: D1CB0059 05660909
	v_fma_f32 v90, v10, v4, v90                                // 00000000A940: D1CB005A 056A090A
	v_fma_f32 v91, v11, v4, v91                                // 00000000A948: D1CB005B 056E090B
	v_mul_f32_dpp v6, v24, v33 row_newbcast:3 row_mask:0xf bank_mask:0xf// 00000000A950: 0A0C42FA FF015318
	v_mfma_f32_16x16x32_fp8_fp8 v[8:11], a[80:81], a[8:9], 0   // 00000000A958: D3F30008 1A021150
	buffer_load_dwordx4 a[216:219], v49, s[24:27], 0 offen     // 00000000A960: E05C1000 8086D831
	v_mfma_f32_16x16x32_fp8_fp8 v[8:11], a[82:83], a[10:11], v[8:11]// 00000000A968: D3F30008 1C221552
	v_mfma_f32_16x16x32_fp8_fp8 v[8:11], a[84:85], a[12:13], v[8:11]// 00000000A970: D3F30008 1C221954
	v_mfma_f32_16x16x32_fp8_fp8 v[8:11], a[86:87], a[14:15], v[8:11]// 00000000A978: D3F30008 1C221D56
	v_fma_f32 v96, v12, v4, v96                                // 00000000A980: D1CB0060 0582090C
	v_fma_f32 v97, v13, v4, v97                                // 00000000A988: D1CB0061 0586090D
	v_fma_f32 v98, v14, v4, v98                                // 00000000A990: D1CB0062 058A090E
	v_fma_f32 v99, v15, v4, v99                                // 00000000A998: D1CB0063 058E090F
	v_mfma_f32_16x16x32_fp8_fp8 v[12:15], a[88:89], a[8:9], 0  // 00000000A9A0: D3F3000C 1A021158
	buffer_load_dwordx4 a[220:223], v49, s[24:27], 0 offen offset:1024// 00000000A9A8: E05C1400 8086DC31
	buffer_load_dword v38, s[20:23], 0 offen lds               // 00000000A9B0: E0511000 80050026
	s_add_u32 m0, 0x100, s50                                   // 00000000A9B8: 807C32FF 00000100
	v_mfma_f32_16x16x32_fp8_fp8 v[12:15], a[90:91], a[10:11], v[12:15]// 00000000A9C0: D3F3000C 1C32155A
	v_mfma_f32_16x16x32_fp8_fp8 v[12:15], a[92:93], a[12:13], v[12:15]// 00000000A9C8: D3F3000C 1C32195C
	buffer_load_dword v39, s[20:23], 0 offen lds               // 00000000A9D0: E0511000 80050027
	s_add_u32 m0, 0x200, s50                                   // 00000000A9D8: 807C32FF 00000200
	v_mfma_f32_16x16x32_fp8_fp8 v[12:15], a[94:95], a[14:15], v[12:15]// 00000000A9E0: D3F3000C 1C321D5E
	v_fma_f32 v104, v8, v6, v104                               // 00000000A9E8: D1CB0068 05A20D08
	v_fma_f32 v105, v9, v6, v105                               // 00000000A9F0: D1CB0069 05A60D09
	v_fma_f32 v106, v10, v6, v106                              // 00000000A9F8: D1CB006A 05AA0D0A
	v_fma_f32 v107, v11, v6, v107                              // 00000000AA00: D1CB006B 05AE0D0B
	v_fma_f32 v112, v12, v6, v112                              // 00000000AA08: D1CB0070 05C20D0C
	v_fma_f32 v113, v13, v6, v113                              // 00000000AA10: D1CB0071 05C60D0D
	v_fma_f32 v114, v14, v6, v114                              // 00000000AA18: D1CB0072 05CA0D0E
	v_fma_f32 v115, v15, v6, v115                              // 00000000AA20: D1CB0073 05CE0D0F
	buffer_load_dword v40, s[20:23], 0 offen lds               // 00000000AA28: E0511000 80050028
	s_add_u32 m0, 0x300, s50                                   // 00000000AA30: 807C32FF 00000300
	buffer_load_dword v41, s[20:23], 0 offen lds               // 00000000AA38: E0511000 80050029
	s_add_u32 m0, 0, s48                                       // 00000000AA40: 807C3080
	buffer_load_dword v36, v30, s[28:31], 0 offen              // 00000000AA44: E0501000 8007241E
	buffer_load_dword v37, v31, s[28:31], 0 offen              // 00000000AA4C: E0501000 8007251F
	s_waitcnt vmcnt(23)                                        // 00000000AA54: BF8C4F77
	s_barrier                                                  // 00000000AA58: BF8A0000
	v_mul_f32_dpp v4, v27, v32 row_newbcast:0 row_mask:0xf bank_mask:0xf// 00000000AA5C: 0A0840FA FF01501B
	v_mfma_f32_16x16x32_fp8_fp8 v[8:11], a[96:97], a[0:1], 0   // 00000000AA64: D3F30008 1A020160
	buffer_load_dword v28, v23, s[32:35], 0 offen              // 00000000AA6C: E0501000 80081C17
	buffer_load_dwordx4 a[32:35], v42, s[84:87], 0 offen       // 00000000AA74: E05C1000 8095202A
	v_mfma_f32_16x16x32_fp8_fp8 v[8:11], a[98:99], a[2:3], v[8:11]// 00000000AA7C: D3F30008 1C220562
	v_mfma_f32_16x16x32_fp8_fp8 v[8:11], a[100:101], a[4:5], v[8:11]// 00000000AA84: D3F30008 1C220964
	ds_read_b128 a[16:19], v2 offset:4224                      // 00000000AA8C: DBFE1080 10000002
	ds_read_b128 a[20:23], v2 offset:4288                      // 00000000AA94: DBFE10C0 14000002
	v_mfma_f32_16x16x32_fp8_fp8 v[8:11], a[102:103], a[6:7], v[8:11]// 00000000AA9C: D3F30008 1C220D66
	v_mfma_f32_16x16x32_fp8_fp8 v[12:15], a[104:105], a[0:1], 0// 00000000AAA4: D3F3000C 1A020168
	buffer_load_dwordx4 a[36:39], v42, s[84:87], 0 offen offset:1024// 00000000AAAC: E05C1400 8095242A
	v_mfma_f32_16x16x32_fp8_fp8 v[12:15], a[106:107], a[2:3], v[12:15]// 00000000AAB4: D3F3000C 1C32056A
	v_mfma_f32_16x16x32_fp8_fp8 v[12:15], a[108:109], a[4:5], v[12:15]// 00000000AABC: D3F3000C 1C32096C
	ds_read_b128 a[24:27], v2 offset:4736                      // 00000000AAC4: DBFE1280 18000002
	ds_read_b128 a[28:31], v2 offset:4800                      // 00000000AACC: DBFE12C0 1C000002
	v_mfma_f32_16x16x32_fp8_fp8 v[12:15], a[110:111], a[6:7], v[12:15]// 00000000AAD4: D3F3000C 1C320D6E
	v_fma_f32 v116, v8, v4, v116                               // 00000000AADC: D1CB0074 05D20908
	v_fma_f32 v117, v9, v4, v117                               // 00000000AAE4: D1CB0075 05D60909
	v_fma_f32 v118, v10, v4, v118                              // 00000000AAEC: D1CB0076 05DA090A
	v_fma_f32 v119, v11, v4, v119                              // 00000000AAF4: D1CB0077 05DE090B
	v_mul_f32_dpp v6, v27, v32 row_newbcast:1 row_mask:0xf bank_mask:0xf// 00000000AAFC: 0A0C40FA FF01511B
	v_mfma_f32_16x16x32_fp8_fp8 v[8:11], a[112:113], a[0:1], 0 // 00000000AB04: D3F30008 1A020170
	buffer_load_dwordx4 a[40:43], v43, s[84:87], 0 offen       // 00000000AB0C: E05C1000 8095282B
	v_mfma_f32_16x16x32_fp8_fp8 v[8:11], a[114:115], a[2:3], v[8:11]// 00000000AB14: D3F30008 1C220572
	v_mfma_f32_16x16x32_fp8_fp8 v[8:11], a[116:117], a[4:5], v[8:11]// 00000000AB1C: D3F30008 1C220974
	v_mfma_f32_16x16x32_fp8_fp8 v[8:11], a[118:119], a[6:7], v[8:11]// 00000000AB24: D3F30008 1C220D76
	v_fma_f32 v124, v12, v4, v124                              // 00000000AB2C: D1CB007C 05F2090C
	v_fma_f32 v125, v13, v4, v125                              // 00000000AB34: D1CB007D 05F6090D
	v_fma_f32 v126, v14, v4, v126                              // 00000000AB3C: D1CB007E 05FA090E
	v_fma_f32 v127, v15, v4, v127                              // 00000000AB44: D1CB007F 05FE090F
	v_mfma_f32_16x16x32_fp8_fp8 v[12:15], a[120:121], a[0:1], 0// 00000000AB4C: D3F3000C 1A020178
	buffer_load_dwordx4 a[44:47], v43, s[84:87], 0 offen offset:1024// 00000000AB54: E05C1400 80952C2B
	v_mfma_f32_16x16x32_fp8_fp8 v[12:15], a[122:123], a[2:3], v[12:15]// 00000000AB5C: D3F3000C 1C32057A
	v_mfma_f32_16x16x32_fp8_fp8 v[12:15], a[124:125], a[4:5], v[12:15]// 00000000AB64: D3F3000C 1C32097C
	v_mfma_f32_16x16x32_fp8_fp8 v[12:15], a[126:127], a[6:7], v[12:15]// 00000000AB6C: D3F3000C 1C320D7E
	v_fma_f32 v132, v8, v6, v132                               // 00000000AB74: D1CB0084 06120D08
	v_fma_f32 v133, v9, v6, v133                               // 00000000AB7C: D1CB0085 06160D09
	v_fma_f32 v134, v10, v6, v134                              // 00000000AB84: D1CB0086 061A0D0A
	v_fma_f32 v135, v11, v6, v135                              // 00000000AB8C: D1CB0087 061E0D0B
	v_mul_f32_dpp v4, v27, v32 row_newbcast:2 row_mask:0xf bank_mask:0xf// 00000000AB94: 0A0840FA FF01521B
	v_mfma_f32_16x16x32_fp8_fp8 v[8:11], a[128:129], a[0:1], 0 // 00000000AB9C: D3F30008 1A020180
	buffer_load_dwordx4 a[48:51], v44, s[84:87], 0 offen       // 00000000ABA4: E05C1000 8095302C
	v_mfma_f32_16x16x32_fp8_fp8 v[8:11], a[130:131], a[2:3], v[8:11]// 00000000ABAC: D3F30008 1C220582
	v_mfma_f32_16x16x32_fp8_fp8 v[8:11], a[132:133], a[4:5], v[8:11]// 00000000ABB4: D3F30008 1C220984
	v_mfma_f32_16x16x32_fp8_fp8 v[8:11], a[134:135], a[6:7], v[8:11]// 00000000ABBC: D3F30008 1C220D86
	v_fma_f32 v140, v12, v6, v140                              // 00000000ABC4: D1CB008C 06320D0C
	v_fma_f32 v141, v13, v6, v141                              // 00000000ABCC: D1CB008D 06360D0D
	v_fma_f32 v142, v14, v6, v142                              // 00000000ABD4: D1CB008E 063A0D0E
	v_fma_f32 v143, v15, v6, v143                              // 00000000ABDC: D1CB008F 063E0D0F
	v_mfma_f32_16x16x32_fp8_fp8 v[12:15], a[136:137], a[0:1], 0// 00000000ABE4: D3F3000C 1A020188
	buffer_load_dwordx4 a[52:55], v44, s[84:87], 0 offen offset:1024// 00000000ABEC: E05C1400 8095342C
	v_mfma_f32_16x16x32_fp8_fp8 v[12:15], a[138:139], a[2:3], v[12:15]// 00000000ABF4: D3F3000C 1C32058A
	v_mfma_f32_16x16x32_fp8_fp8 v[12:15], a[140:141], a[4:5], v[12:15]// 00000000ABFC: D3F3000C 1C32098C
	v_mfma_f32_16x16x32_fp8_fp8 v[12:15], a[142:143], a[6:7], v[12:15]// 00000000AC04: D3F3000C 1C320D8E
	v_fma_f32 v148, v8, v4, v148                               // 00000000AC0C: D1CB0094 06520908
	v_fma_f32 v149, v9, v4, v149                               // 00000000AC14: D1CB0095 06560909
	v_fma_f32 v150, v10, v4, v150                              // 00000000AC1C: D1CB0096 065A090A
	v_fma_f32 v151, v11, v4, v151                              // 00000000AC24: D1CB0097 065E090B
	v_mul_f32_dpp v6, v27, v32 row_newbcast:3 row_mask:0xf bank_mask:0xf// 00000000AC2C: 0A0C40FA FF01531B
	v_mfma_f32_16x16x32_fp8_fp8 v[8:11], a[144:145], a[0:1], 0 // 00000000AC34: D3F30008 1A020190
	buffer_load_dwordx4 a[56:59], v45, s[84:87], 0 offen       // 00000000AC3C: E05C1000 8095382D
	v_mfma_f32_16x16x32_fp8_fp8 v[8:11], a[146:147], a[2:3], v[8:11]// 00000000AC44: D3F30008 1C220592
	v_mfma_f32_16x16x32_fp8_fp8 v[8:11], a[148:149], a[4:5], v[8:11]// 00000000AC4C: D3F30008 1C220994
	v_mfma_f32_16x16x32_fp8_fp8 v[8:11], a[150:151], a[6:7], v[8:11]// 00000000AC54: D3F30008 1C220D96
	v_fma_f32 v156, v12, v4, v156                              // 00000000AC5C: D1CB009C 0672090C
	v_fma_f32 v157, v13, v4, v157                              // 00000000AC64: D1CB009D 0676090D
	v_fma_f32 v158, v14, v4, v158                              // 00000000AC6C: D1CB009E 067A090E
	v_fma_f32 v159, v15, v4, v159                              // 00000000AC74: D1CB009F 067E090F
	v_mfma_f32_16x16x32_fp8_fp8 v[12:15], a[152:153], a[0:1], 0// 00000000AC7C: D3F3000C 1A020198
	buffer_load_dwordx4 a[60:63], v45, s[84:87], 0 offen offset:1024// 00000000AC84: E05C1400 80953C2D
	v_mfma_f32_16x16x32_fp8_fp8 v[12:15], a[154:155], a[2:3], v[12:15]// 00000000AC8C: D3F3000C 1C32059A
	v_mfma_f32_16x16x32_fp8_fp8 v[12:15], a[156:157], a[4:5], v[12:15]// 00000000AC94: D3F3000C 1C32099C
	v_mfma_f32_16x16x32_fp8_fp8 v[12:15], a[158:159], a[6:7], v[12:15]// 00000000AC9C: D3F3000C 1C320D9E
	v_fma_f32 v164, v8, v6, v164                               // 00000000ACA4: D1CB00A4 06920D08
	v_fma_f32 v165, v9, v6, v165                               // 00000000ACAC: D1CB00A5 06960D09
	v_fma_f32 v166, v10, v6, v166                              // 00000000ACB4: D1CB00A6 069A0D0A
	v_fma_f32 v167, v11, v6, v167                              // 00000000ACBC: D1CB00A7 069E0D0B
	v_mul_f32_dpp v4, v27, v33 row_newbcast:0 row_mask:0xf bank_mask:0xf// 00000000ACC4: 0A0842FA FF01501B
	v_mfma_f32_16x16x32_fp8_fp8 v[8:11], a[96:97], a[8:9], 0   // 00000000ACCC: D3F30008 1A021160
	buffer_load_dwordx4 a[64:67], v46, s[84:87], 0 offen       // 00000000ACD4: E05C1000 8095402E
	v_mfma_f32_16x16x32_fp8_fp8 v[8:11], a[98:99], a[10:11], v[8:11]// 00000000ACDC: D3F30008 1C221562
	v_mfma_f32_16x16x32_fp8_fp8 v[8:11], a[100:101], a[12:13], v[8:11]// 00000000ACE4: D3F30008 1C221964
	v_mfma_f32_16x16x32_fp8_fp8 v[8:11], a[102:103], a[14:15], v[8:11]// 00000000ACEC: D3F30008 1C221D66
	v_fma_f32 v172, v12, v6, v172                              // 00000000ACF4: D1CB00AC 06B20D0C
	v_fma_f32 v173, v13, v6, v173                              // 00000000ACFC: D1CB00AD 06B60D0D
	v_fma_f32 v174, v14, v6, v174                              // 00000000AD04: D1CB00AE 06BA0D0E
	v_fma_f32 v175, v15, v6, v175                              // 00000000AD0C: D1CB00AF 06BE0D0F
	v_mfma_f32_16x16x32_fp8_fp8 v[12:15], a[104:105], a[8:9], 0// 00000000AD14: D3F3000C 1A021168
	buffer_load_dwordx4 a[68:71], v46, s[84:87], 0 offen offset:1024// 00000000AD1C: E05C1400 8095442E
	v_mfma_f32_16x16x32_fp8_fp8 v[12:15], a[106:107], a[10:11], v[12:15]// 00000000AD24: D3F3000C 1C32156A
	v_mfma_f32_16x16x32_fp8_fp8 v[12:15], a[108:109], a[12:13], v[12:15]// 00000000AD2C: D3F3000C 1C32196C
	v_mfma_f32_16x16x32_fp8_fp8 v[12:15], a[110:111], a[14:15], v[12:15]// 00000000AD34: D3F3000C 1C321D6E
	v_fma_f32 v120, v8, v4, v120                               // 00000000AD3C: D1CB0078 05E20908
	v_fma_f32 v121, v9, v4, v121                               // 00000000AD44: D1CB0079 05E60909
	v_fma_f32 v122, v10, v4, v122                              // 00000000AD4C: D1CB007A 05EA090A
	v_fma_f32 v123, v11, v4, v123                              // 00000000AD54: D1CB007B 05EE090B
	v_mul_f32_dpp v6, v27, v33 row_newbcast:1 row_mask:0xf bank_mask:0xf// 00000000AD5C: 0A0C42FA FF01511B
	v_mfma_f32_16x16x32_fp8_fp8 v[8:11], a[112:113], a[8:9], 0 // 00000000AD64: D3F30008 1A021170
	buffer_load_dwordx4 a[72:75], v47, s[84:87], 0 offen       // 00000000AD6C: E05C1000 8095482F
	v_mfma_f32_16x16x32_fp8_fp8 v[8:11], a[114:115], a[10:11], v[8:11]// 00000000AD74: D3F30008 1C221572
	v_mfma_f32_16x16x32_fp8_fp8 v[8:11], a[116:117], a[12:13], v[8:11]// 00000000AD7C: D3F30008 1C221974
	v_mfma_f32_16x16x32_fp8_fp8 v[8:11], a[118:119], a[14:15], v[8:11]// 00000000AD84: D3F30008 1C221D76
	v_fma_f32 v128, v12, v4, v128                              // 00000000AD8C: D1CB0080 0602090C
	v_fma_f32 v129, v13, v4, v129                              // 00000000AD94: D1CB0081 0606090D
	v_fma_f32 v130, v14, v4, v130                              // 00000000AD9C: D1CB0082 060A090E
	v_fma_f32 v131, v15, v4, v131                              // 00000000ADA4: D1CB0083 060E090F
	v_mfma_f32_16x16x32_fp8_fp8 v[12:15], a[120:121], a[8:9], 0// 00000000ADAC: D3F3000C 1A021178
	buffer_load_dwordx4 a[76:79], v47, s[84:87], 0 offen offset:1024// 00000000ADB4: E05C1400 80954C2F
	v_mfma_f32_16x16x32_fp8_fp8 v[12:15], a[122:123], a[10:11], v[12:15]// 00000000ADBC: D3F3000C 1C32157A
	v_mfma_f32_16x16x32_fp8_fp8 v[12:15], a[124:125], a[12:13], v[12:15]// 00000000ADC4: D3F3000C 1C32197C
	v_mfma_f32_16x16x32_fp8_fp8 v[12:15], a[126:127], a[14:15], v[12:15]// 00000000ADCC: D3F3000C 1C321D7E
	v_fma_f32 v136, v8, v6, v136                               // 00000000ADD4: D1CB0088 06220D08
	v_fma_f32 v137, v9, v6, v137                               // 00000000ADDC: D1CB0089 06260D09
	v_fma_f32 v138, v10, v6, v138                              // 00000000ADE4: D1CB008A 062A0D0A
	v_fma_f32 v139, v11, v6, v139                              // 00000000ADEC: D1CB008B 062E0D0B
	v_mul_f32_dpp v4, v27, v33 row_newbcast:2 row_mask:0xf bank_mask:0xf// 00000000ADF4: 0A0842FA FF01521B
	v_mfma_f32_16x16x32_fp8_fp8 v[8:11], a[128:129], a[8:9], 0 // 00000000ADFC: D3F30008 1A021180
	buffer_load_dwordx4 a[80:83], v48, s[84:87], 0 offen       // 00000000AE04: E05C1000 80955030
	v_mfma_f32_16x16x32_fp8_fp8 v[8:11], a[130:131], a[10:11], v[8:11]// 00000000AE0C: D3F30008 1C221582
	v_mfma_f32_16x16x32_fp8_fp8 v[8:11], a[132:133], a[12:13], v[8:11]// 00000000AE14: D3F30008 1C221984
	v_mfma_f32_16x16x32_fp8_fp8 v[8:11], a[134:135], a[14:15], v[8:11]// 00000000AE1C: D3F30008 1C221D86
	v_fma_f32 v144, v12, v6, v144                              // 00000000AE24: D1CB0090 06420D0C
	v_fma_f32 v145, v13, v6, v145                              // 00000000AE2C: D1CB0091 06460D0D
	v_fma_f32 v146, v14, v6, v146                              // 00000000AE34: D1CB0092 064A0D0E
	v_fma_f32 v147, v15, v6, v147                              // 00000000AE3C: D1CB0093 064E0D0F
	v_mfma_f32_16x16x32_fp8_fp8 v[12:15], a[136:137], a[8:9], 0// 00000000AE44: D3F3000C 1A021188
	buffer_load_dwordx4 a[84:87], v48, s[84:87], 0 offen offset:1024// 00000000AE4C: E05C1400 80955430
	v_mfma_f32_16x16x32_fp8_fp8 v[12:15], a[138:139], a[10:11], v[12:15]// 00000000AE54: D3F3000C 1C32158A
	v_mfma_f32_16x16x32_fp8_fp8 v[12:15], a[140:141], a[12:13], v[12:15]// 00000000AE5C: D3F3000C 1C32198C
	v_mfma_f32_16x16x32_fp8_fp8 v[12:15], a[142:143], a[14:15], v[12:15]// 00000000AE64: D3F3000C 1C321D8E
	v_fma_f32 v152, v8, v4, v152                               // 00000000AE6C: D1CB0098 06620908
	v_fma_f32 v153, v9, v4, v153                               // 00000000AE74: D1CB0099 06660909
	v_fma_f32 v154, v10, v4, v154                              // 00000000AE7C: D1CB009A 066A090A
	v_fma_f32 v155, v11, v4, v155                              // 00000000AE84: D1CB009B 066E090B
	v_mul_f32_dpp v6, v27, v33 row_newbcast:3 row_mask:0xf bank_mask:0xf// 00000000AE8C: 0A0C42FA FF01531B
	v_mfma_f32_16x16x32_fp8_fp8 v[8:11], a[144:145], a[8:9], 0 // 00000000AE94: D3F30008 1A021190
	buffer_load_dwordx4 a[88:91], v49, s[84:87], 0 offen       // 00000000AE9C: E05C1000 80955831
	s_add_u32 s60, 0x180, s80                                  // 00000000AEA4: 803C50FF 00000180
	s_cmp_lt_u32 s60, s81                                      // 00000000AEAC: BF0A513C
	s_cselect_b32 s57, s57, 0                                  // 00000000AEB0: 85398039
	s_cselect_b32 s3, s3, 0                                    // 00000000AEB4: 85038003
	v_mfma_f32_16x16x32_fp8_fp8 v[8:11], a[146:147], a[10:11], v[8:11]// 00000000AEB8: D3F30008 1C221592
	s_add_u32 s60, 0x100, s80                                  // 00000000AEC0: 803C50FF 00000100
	s_cmp_lt_u32 s60, s81                                      // 00000000AEC8: BF0A513C
	s_cselect_b32 s58, s58, 0                                  // 00000000AECC: 853A803A
	v_mfma_f32_16x16x32_fp8_fp8 v[8:11], a[148:149], a[12:13], v[8:11]// 00000000AED0: D3F30008 1C221994
	s_add_u32 s60, 0x100, s80                                  // 00000000AED8: 803C50FF 00000100
	s_cmp_lt_u32 s60, s81                                      // 00000000AEE0: BF0A513C
	s_cselect_b32 s83, s83, 0                                  // 00000000AEE4: 85538053
	s_cselect_b32 s4, s4, 0                                    // 00000000AEE8: 85048004
	v_mfma_f32_16x16x32_fp8_fp8 v[8:11], a[150:151], a[14:15], v[8:11]// 00000000AEEC: D3F30008 1C221D96
	s_add_u32 s24, s58, s24                                    // 00000000AEF4: 8018183A
	s_addc_u32 s25, 0, s25                                     // 00000000AEF8: 82191980
	v_fma_f32 v160, v12, v4, v160                              // 00000000AEFC: D1CB00A0 0682090C
	v_fma_f32 v161, v13, v4, v161                              // 00000000AF04: D1CB00A1 0686090D
	v_fma_f32 v162, v14, v4, v162                              // 00000000AF0C: D1CB00A2 068A090E
	v_fma_f32 v163, v15, v4, v163                              // 00000000AF14: D1CB00A3 068E090F
	v_mfma_f32_16x16x32_fp8_fp8 v[12:15], a[152:153], a[8:9], 0// 00000000AF1C: D3F3000C 1A021198
	buffer_load_dwordx4 a[92:95], v49, s[84:87], 0 offen offset:1024// 00000000AF24: E05C1400 80955C31
	s_add_u32 s20, s57, s20                                    // 00000000AF2C: 80141439
	s_addc_u32 s21, 0, s21                                     // 00000000AF30: 82151580
	s_add_u32 s28, s3, s28                                     // 00000000AF34: 801C1C03
	s_addc_u32 s29, 0, s29                                     // 00000000AF38: 821D1D80
	v_mfma_f32_16x16x32_fp8_fp8 v[12:15], a[154:155], a[10:11], v[12:15]// 00000000AF3C: D3F3000C 1C32159A
	s_add_u32 s84, s83, s84                                    // 00000000AF44: 80545453
	s_addc_u32 s85, 0, s85                                     // 00000000AF48: 82555580
	v_mfma_f32_16x16x32_fp8_fp8 v[12:15], a[156:157], a[12:13], v[12:15]// 00000000AF4C: D3F3000C 1C32199C
	s_add_u32 s32, s4, s32                                     // 00000000AF54: 80202004
	s_addc_u32 s33, 0, s33                                     // 00000000AF58: 82212180
	v_mfma_f32_16x16x32_fp8_fp8 v[12:15], a[158:159], a[14:15], v[12:15]// 00000000AF5C: D3F3000C 1C321D9E
	v_fma_f32 v168, v8, v6, v168                               // 00000000AF64: D1CB00A8 06A20D08
	v_fma_f32 v169, v9, v6, v169                               // 00000000AF6C: D1CB00A9 06A60D09
	v_fma_f32 v170, v10, v6, v170                              // 00000000AF74: D1CB00AA 06AA0D0A
	v_fma_f32 v171, v11, v6, v171                              // 00000000AF7C: D1CB00AB 06AE0D0B
	v_fma_f32 v176, v12, v6, v176                              // 00000000AF84: D1CB00B0 06C20D0C
	v_fma_f32 v177, v13, v6, v177                              // 00000000AF8C: D1CB00B1 06C60D0D
	v_fma_f32 v178, v14, v6, v178                              // 00000000AF94: D1CB00B2 06CA0D0E
	v_fma_f32 v179, v15, v6, v179                              // 00000000AF9C: D1CB00B3 06CE0D0F
	s_addk_i32 s80, 0x80                                       // 00000000AFA4: B7500080
	s_cmp_lt_i32 s80, s81                                      // 00000000AFA8: BF045150
	s_cbranch_scc0 label_2E81                                  // 00000000AFAC: BF840D12
	s_waitcnt vmcnt(23) lgkmcnt(0)                             // 00000000AFB0: BF8C4077
	v_mul_f32_dpp v4, v25, v34 row_newbcast:0 row_mask:0xf bank_mask:0xf// 00000000AFB4: 0A0844FA FF015019
	v_mfma_f32_16x16x32_fp8_fp8 v[8:11], a[160:161], a[16:17], 0// 00000000AFBC: D3F30008 1A0221A0
	buffer_load_dword v26, v22, s[32:35], 0 offen              // 00000000AFC4: E0501000 80081A16
	buffer_load_dwordx4 a[96:99], v42, s[24:27], 0 offen       // 00000000AFCC: E05C1000 8086602A
	v_mfma_f32_16x16x32_fp8_fp8 v[8:11], a[162:163], a[18:19], v[8:11]// 00000000AFD4: D3F30008 1C2225A2
	v_mfma_f32_16x16x32_fp8_fp8 v[8:11], a[164:165], a[20:21], v[8:11]// 00000000AFDC: D3F30008 1C2229A4
	v_mfma_f32_16x16x32_fp8_fp8 v[8:11], a[166:167], a[22:23], v[8:11]// 00000000AFE4: D3F30008 1C222DA6
	v_mfma_f32_16x16x32_fp8_fp8 v[12:15], a[168:169], a[16:17], 0// 00000000AFEC: D3F3000C 1A0221A8
	buffer_load_dwordx4 a[100:103], v42, s[24:27], 0 offen offset:1024// 00000000AFF4: E05C1400 8086642A
	v_mfma_f32_16x16x32_fp8_fp8 v[12:15], a[170:171], a[18:19], v[12:15]// 00000000AFFC: D3F3000C 1C3225AA
	v_mfma_f32_16x16x32_fp8_fp8 v[12:15], a[172:173], a[20:21], v[12:15]// 00000000B004: D3F3000C 1C3229AC
	v_mfma_f32_16x16x32_fp8_fp8 v[12:15], a[174:175], a[22:23], v[12:15]// 00000000B00C: D3F3000C 1C322DAE
	v_fma_f32 v52, v8, v4, v52                                 // 00000000B014: D1CB0034 04D20908
	v_fma_f32 v53, v9, v4, v53                                 // 00000000B01C: D1CB0035 04D60909
	v_fma_f32 v54, v10, v4, v54                                // 00000000B024: D1CB0036 04DA090A
	v_fma_f32 v55, v11, v4, v55                                // 00000000B02C: D1CB0037 04DE090B
	v_mul_f32_dpp v6, v25, v34 row_newbcast:1 row_mask:0xf bank_mask:0xf// 00000000B034: 0A0C44FA FF015119
	v_mfma_f32_16x16x32_fp8_fp8 v[8:11], a[176:177], a[16:17], 0// 00000000B03C: D3F30008 1A0221B0
	buffer_load_dwordx4 a[104:107], v43, s[24:27], 0 offen     // 00000000B044: E05C1000 8086682B
	v_mfma_f32_16x16x32_fp8_fp8 v[8:11], a[178:179], a[18:19], v[8:11]// 00000000B04C: D3F30008 1C2225B2
	v_mfma_f32_16x16x32_fp8_fp8 v[8:11], a[180:181], a[20:21], v[8:11]// 00000000B054: D3F30008 1C2229B4
	v_mfma_f32_16x16x32_fp8_fp8 v[8:11], a[182:183], a[22:23], v[8:11]// 00000000B05C: D3F30008 1C222DB6
	v_fma_f32 v60, v12, v4, v60                                // 00000000B064: D1CB003C 04F2090C
	v_fma_f32 v61, v13, v4, v61                                // 00000000B06C: D1CB003D 04F6090D
	v_fma_f32 v62, v14, v4, v62                                // 00000000B074: D1CB003E 04FA090E
	v_fma_f32 v63, v15, v4, v63                                // 00000000B07C: D1CB003F 04FE090F
	v_mfma_f32_16x16x32_fp8_fp8 v[12:15], a[184:185], a[16:17], 0// 00000000B084: D3F3000C 1A0221B8
	buffer_load_dwordx4 a[108:111], v43, s[24:27], 0 offen offset:1024// 00000000B08C: E05C1400 80866C2B
	v_mfma_f32_16x16x32_fp8_fp8 v[12:15], a[186:187], a[18:19], v[12:15]// 00000000B094: D3F3000C 1C3225BA
	v_mfma_f32_16x16x32_fp8_fp8 v[12:15], a[188:189], a[20:21], v[12:15]// 00000000B09C: D3F3000C 1C3229BC
	v_mfma_f32_16x16x32_fp8_fp8 v[12:15], a[190:191], a[22:23], v[12:15]// 00000000B0A4: D3F3000C 1C322DBE
	v_fma_f32 v68, v8, v6, v68                                 // 00000000B0AC: D1CB0044 05120D08
	v_fma_f32 v69, v9, v6, v69                                 // 00000000B0B4: D1CB0045 05160D09
	v_fma_f32 v70, v10, v6, v70                                // 00000000B0BC: D1CB0046 051A0D0A
	v_fma_f32 v71, v11, v6, v71                                // 00000000B0C4: D1CB0047 051E0D0B
	v_mul_f32_dpp v4, v25, v34 row_newbcast:2 row_mask:0xf bank_mask:0xf// 00000000B0CC: 0A0844FA FF015219
	v_mfma_f32_16x16x32_fp8_fp8 v[8:11], a[192:193], a[16:17], 0// 00000000B0D4: D3F30008 1A0221C0
	buffer_load_dwordx4 a[112:115], v44, s[24:27], 0 offen     // 00000000B0DC: E05C1000 8086702C
	v_mfma_f32_16x16x32_fp8_fp8 v[8:11], a[194:195], a[18:19], v[8:11]// 00000000B0E4: D3F30008 1C2225C2
	v_mfma_f32_16x16x32_fp8_fp8 v[8:11], a[196:197], a[20:21], v[8:11]// 00000000B0EC: D3F30008 1C2229C4
	v_mfma_f32_16x16x32_fp8_fp8 v[8:11], a[198:199], a[22:23], v[8:11]// 00000000B0F4: D3F30008 1C222DC6
	v_fma_f32 v76, v12, v6, v76                                // 00000000B0FC: D1CB004C 05320D0C
	v_fma_f32 v77, v13, v6, v77                                // 00000000B104: D1CB004D 05360D0D
	v_fma_f32 v78, v14, v6, v78                                // 00000000B10C: D1CB004E 053A0D0E
	v_fma_f32 v79, v15, v6, v79                                // 00000000B114: D1CB004F 053E0D0F
	v_mfma_f32_16x16x32_fp8_fp8 v[12:15], a[200:201], a[16:17], 0// 00000000B11C: D3F3000C 1A0221C8
	buffer_load_dwordx4 a[116:119], v44, s[24:27], 0 offen offset:1024// 00000000B124: E05C1400 8086742C
	v_mfma_f32_16x16x32_fp8_fp8 v[12:15], a[202:203], a[18:19], v[12:15]// 00000000B12C: D3F3000C 1C3225CA
	v_mfma_f32_16x16x32_fp8_fp8 v[12:15], a[204:205], a[20:21], v[12:15]// 00000000B134: D3F3000C 1C3229CC
	v_mfma_f32_16x16x32_fp8_fp8 v[12:15], a[206:207], a[22:23], v[12:15]// 00000000B13C: D3F3000C 1C322DCE
	v_fma_f32 v84, v8, v4, v84                                 // 00000000B144: D1CB0054 05520908
	v_fma_f32 v85, v9, v4, v85                                 // 00000000B14C: D1CB0055 05560909
	v_fma_f32 v86, v10, v4, v86                                // 00000000B154: D1CB0056 055A090A
	v_fma_f32 v87, v11, v4, v87                                // 00000000B15C: D1CB0057 055E090B
	v_mul_f32_dpp v6, v25, v34 row_newbcast:3 row_mask:0xf bank_mask:0xf// 00000000B164: 0A0C44FA FF015319
	v_mfma_f32_16x16x32_fp8_fp8 v[8:11], a[208:209], a[16:17], 0// 00000000B16C: D3F30008 1A0221D0
	buffer_load_dwordx4 a[120:123], v45, s[24:27], 0 offen     // 00000000B174: E05C1000 8086782D
	v_mfma_f32_16x16x32_fp8_fp8 v[8:11], a[210:211], a[18:19], v[8:11]// 00000000B17C: D3F30008 1C2225D2
	v_mfma_f32_16x16x32_fp8_fp8 v[8:11], a[212:213], a[20:21], v[8:11]// 00000000B184: D3F30008 1C2229D4
	v_mfma_f32_16x16x32_fp8_fp8 v[8:11], a[214:215], a[22:23], v[8:11]// 00000000B18C: D3F30008 1C222DD6
	v_fma_f32 v92, v12, v4, v92                                // 00000000B194: D1CB005C 0572090C
	v_fma_f32 v93, v13, v4, v93                                // 00000000B19C: D1CB005D 0576090D
	v_fma_f32 v94, v14, v4, v94                                // 00000000B1A4: D1CB005E 057A090E
	v_fma_f32 v95, v15, v4, v95                                // 00000000B1AC: D1CB005F 057E090F
	v_mfma_f32_16x16x32_fp8_fp8 v[12:15], a[216:217], a[16:17], 0// 00000000B1B4: D3F3000C 1A0221D8
	buffer_load_dwordx4 a[124:127], v45, s[24:27], 0 offen offset:1024// 00000000B1BC: E05C1400 80867C2D
	v_mfma_f32_16x16x32_fp8_fp8 v[12:15], a[218:219], a[18:19], v[12:15]// 00000000B1C4: D3F3000C 1C3225DA
	v_mfma_f32_16x16x32_fp8_fp8 v[12:15], a[220:221], a[20:21], v[12:15]// 00000000B1CC: D3F3000C 1C3229DC
	v_mfma_f32_16x16x32_fp8_fp8 v[12:15], a[222:223], a[22:23], v[12:15]// 00000000B1D4: D3F3000C 1C322DDE
	v_fma_f32 v100, v8, v6, v100                               // 00000000B1DC: D1CB0064 05920D08
	v_fma_f32 v101, v9, v6, v101                               // 00000000B1E4: D1CB0065 05960D09
	v_fma_f32 v102, v10, v6, v102                              // 00000000B1EC: D1CB0066 059A0D0A
	v_fma_f32 v103, v11, v6, v103                              // 00000000B1F4: D1CB0067 059E0D0B
	v_mul_f32_dpp v4, v25, v35 row_newbcast:0 row_mask:0xf bank_mask:0xf// 00000000B1FC: 0A0846FA FF015019
	v_mfma_f32_16x16x32_fp8_fp8 v[8:11], a[160:161], a[24:25], 0// 00000000B204: D3F30008 1A0231A0
	buffer_load_dwordx4 a[128:131], v46, s[24:27], 0 offen     // 00000000B20C: E05C1000 8086802E
	v_mfma_f32_16x16x32_fp8_fp8 v[8:11], a[162:163], a[26:27], v[8:11]// 00000000B214: D3F30008 1C2235A2
	v_mfma_f32_16x16x32_fp8_fp8 v[8:11], a[164:165], a[28:29], v[8:11]// 00000000B21C: D3F30008 1C2239A4
	v_mfma_f32_16x16x32_fp8_fp8 v[8:11], a[166:167], a[30:31], v[8:11]// 00000000B224: D3F30008 1C223DA6
	v_fma_f32 v108, v12, v6, v108                              // 00000000B22C: D1CB006C 05B20D0C
	v_fma_f32 v109, v13, v6, v109                              // 00000000B234: D1CB006D 05B60D0D
	v_fma_f32 v110, v14, v6, v110                              // 00000000B23C: D1CB006E 05BA0D0E
	v_fma_f32 v111, v15, v6, v111                              // 00000000B244: D1CB006F 05BE0D0F
	v_mfma_f32_16x16x32_fp8_fp8 v[12:15], a[168:169], a[24:25], 0// 00000000B24C: D3F3000C 1A0231A8
	buffer_load_dwordx4 a[132:135], v46, s[24:27], 0 offen offset:1024// 00000000B254: E05C1400 8086842E
	v_mfma_f32_16x16x32_fp8_fp8 v[12:15], a[170:171], a[26:27], v[12:15]// 00000000B25C: D3F3000C 1C3235AA
	v_mfma_f32_16x16x32_fp8_fp8 v[12:15], a[172:173], a[28:29], v[12:15]// 00000000B264: D3F3000C 1C3239AC
	v_mfma_f32_16x16x32_fp8_fp8 v[12:15], a[174:175], a[30:31], v[12:15]// 00000000B26C: D3F3000C 1C323DAE
	v_fma_f32 v56, v8, v4, v56                                 // 00000000B274: D1CB0038 04E20908
	v_fma_f32 v57, v9, v4, v57                                 // 00000000B27C: D1CB0039 04E60909
	v_fma_f32 v58, v10, v4, v58                                // 00000000B284: D1CB003A 04EA090A
	v_fma_f32 v59, v11, v4, v59                                // 00000000B28C: D1CB003B 04EE090B
	v_mul_f32_dpp v6, v25, v35 row_newbcast:1 row_mask:0xf bank_mask:0xf// 00000000B294: 0A0C46FA FF015119
	v_mfma_f32_16x16x32_fp8_fp8 v[8:11], a[176:177], a[24:25], 0// 00000000B29C: D3F30008 1A0231B0
	buffer_load_dwordx4 a[136:139], v47, s[24:27], 0 offen     // 00000000B2A4: E05C1000 8086882F
	v_mfma_f32_16x16x32_fp8_fp8 v[8:11], a[178:179], a[26:27], v[8:11]// 00000000B2AC: D3F30008 1C2235B2
	v_mfma_f32_16x16x32_fp8_fp8 v[8:11], a[180:181], a[28:29], v[8:11]// 00000000B2B4: D3F30008 1C2239B4
	v_mfma_f32_16x16x32_fp8_fp8 v[8:11], a[182:183], a[30:31], v[8:11]// 00000000B2BC: D3F30008 1C223DB6
	v_fma_f32 v64, v12, v4, v64                                // 00000000B2C4: D1CB0040 0502090C
	v_fma_f32 v65, v13, v4, v65                                // 00000000B2CC: D1CB0041 0506090D
	v_fma_f32 v66, v14, v4, v66                                // 00000000B2D4: D1CB0042 050A090E
	v_fma_f32 v67, v15, v4, v67                                // 00000000B2DC: D1CB0043 050E090F
	v_mfma_f32_16x16x32_fp8_fp8 v[12:15], a[184:185], a[24:25], 0// 00000000B2E4: D3F3000C 1A0231B8
	buffer_load_dwordx4 a[140:143], v47, s[24:27], 0 offen offset:1024// 00000000B2EC: E05C1400 80868C2F
	v_mfma_f32_16x16x32_fp8_fp8 v[12:15], a[186:187], a[26:27], v[12:15]// 00000000B2F4: D3F3000C 1C3235BA
	v_mfma_f32_16x16x32_fp8_fp8 v[12:15], a[188:189], a[28:29], v[12:15]// 00000000B2FC: D3F3000C 1C3239BC
	v_mfma_f32_16x16x32_fp8_fp8 v[12:15], a[190:191], a[30:31], v[12:15]// 00000000B304: D3F3000C 1C323DBE
	v_fma_f32 v72, v8, v6, v72                                 // 00000000B30C: D1CB0048 05220D08
	v_fma_f32 v73, v9, v6, v73                                 // 00000000B314: D1CB0049 05260D09
	v_fma_f32 v74, v10, v6, v74                                // 00000000B31C: D1CB004A 052A0D0A
	v_fma_f32 v75, v11, v6, v75                                // 00000000B324: D1CB004B 052E0D0B
	v_mul_f32_dpp v4, v25, v35 row_newbcast:2 row_mask:0xf bank_mask:0xf// 00000000B32C: 0A0846FA FF015219
	v_mfma_f32_16x16x32_fp8_fp8 v[8:11], a[192:193], a[24:25], 0// 00000000B334: D3F30008 1A0231C0
	buffer_load_dwordx4 a[144:147], v48, s[24:27], 0 offen     // 00000000B33C: E05C1000 80869030
	v_mfma_f32_16x16x32_fp8_fp8 v[8:11], a[194:195], a[26:27], v[8:11]// 00000000B344: D3F30008 1C2235C2
	v_mfma_f32_16x16x32_fp8_fp8 v[8:11], a[196:197], a[28:29], v[8:11]// 00000000B34C: D3F30008 1C2239C4
	v_mfma_f32_16x16x32_fp8_fp8 v[8:11], a[198:199], a[30:31], v[8:11]// 00000000B354: D3F30008 1C223DC6
	v_fma_f32 v80, v12, v6, v80                                // 00000000B35C: D1CB0050 05420D0C
	v_fma_f32 v81, v13, v6, v81                                // 00000000B364: D1CB0051 05460D0D
	v_fma_f32 v82, v14, v6, v82                                // 00000000B36C: D1CB0052 054A0D0E
	v_fma_f32 v83, v15, v6, v83                                // 00000000B374: D1CB0053 054E0D0F
	v_mfma_f32_16x16x32_fp8_fp8 v[12:15], a[200:201], a[24:25], 0// 00000000B37C: D3F3000C 1A0231C8
	buffer_load_dwordx4 a[148:151], v48, s[24:27], 0 offen offset:1024// 00000000B384: E05C1400 80869430
	v_mfma_f32_16x16x32_fp8_fp8 v[12:15], a[202:203], a[26:27], v[12:15]// 00000000B38C: D3F3000C 1C3235CA
	v_mfma_f32_16x16x32_fp8_fp8 v[12:15], a[204:205], a[28:29], v[12:15]// 00000000B394: D3F3000C 1C3239CC
	v_mfma_f32_16x16x32_fp8_fp8 v[12:15], a[206:207], a[30:31], v[12:15]// 00000000B39C: D3F3000C 1C323DCE
	v_fma_f32 v88, v8, v4, v88                                 // 00000000B3A4: D1CB0058 05620908
	v_fma_f32 v89, v9, v4, v89                                 // 00000000B3AC: D1CB0059 05660909
	v_fma_f32 v90, v10, v4, v90                                // 00000000B3B4: D1CB005A 056A090A
	v_fma_f32 v91, v11, v4, v91                                // 00000000B3BC: D1CB005B 056E090B
	v_mul_f32_dpp v6, v25, v35 row_newbcast:3 row_mask:0xf bank_mask:0xf// 00000000B3C4: 0A0C46FA FF015319
	v_mfma_f32_16x16x32_fp8_fp8 v[8:11], a[208:209], a[24:25], 0// 00000000B3CC: D3F30008 1A0231D0
	buffer_load_dwordx4 a[152:155], v49, s[24:27], 0 offen     // 00000000B3D4: E05C1000 80869831
	v_mfma_f32_16x16x32_fp8_fp8 v[8:11], a[210:211], a[26:27], v[8:11]// 00000000B3DC: D3F30008 1C2235D2
	v_mfma_f32_16x16x32_fp8_fp8 v[8:11], a[212:213], a[28:29], v[8:11]// 00000000B3E4: D3F30008 1C2239D4
	v_mfma_f32_16x16x32_fp8_fp8 v[8:11], a[214:215], a[30:31], v[8:11]// 00000000B3EC: D3F30008 1C223DD6
	v_fma_f32 v96, v12, v4, v96                                // 00000000B3F4: D1CB0060 0582090C
	v_fma_f32 v97, v13, v4, v97                                // 00000000B3FC: D1CB0061 0586090D
	v_fma_f32 v98, v14, v4, v98                                // 00000000B404: D1CB0062 058A090E
	v_fma_f32 v99, v15, v4, v99                                // 00000000B40C: D1CB0063 058E090F
	v_mfma_f32_16x16x32_fp8_fp8 v[12:15], a[216:217], a[24:25], 0// 00000000B414: D3F3000C 1A0231D8
	buffer_load_dwordx4 a[156:159], v49, s[24:27], 0 offen offset:1024// 00000000B41C: E05C1400 80869C31
	buffer_load_dword v38, s[20:23], 0 offen lds               // 00000000B424: E0511000 80050026
	s_add_u32 m0, 0x100, s48                                   // 00000000B42C: 807C30FF 00000100
	v_mfma_f32_16x16x32_fp8_fp8 v[12:15], a[218:219], a[26:27], v[12:15]// 00000000B434: D3F3000C 1C3235DA
	v_mfma_f32_16x16x32_fp8_fp8 v[12:15], a[220:221], a[28:29], v[12:15]// 00000000B43C: D3F3000C 1C3239DC
	buffer_load_dword v39, s[20:23], 0 offen lds               // 00000000B444: E0511000 80050027
	s_add_u32 m0, 0x200, s48                                   // 00000000B44C: 807C30FF 00000200
	v_mfma_f32_16x16x32_fp8_fp8 v[12:15], a[222:223], a[30:31], v[12:15]// 00000000B454: D3F3000C 1C323DDE
	v_fma_f32 v104, v8, v6, v104                               // 00000000B45C: D1CB0068 05A20D08
	v_fma_f32 v105, v9, v6, v105                               // 00000000B464: D1CB0069 05A60D09
	v_fma_f32 v106, v10, v6, v106                              // 00000000B46C: D1CB006A 05AA0D0A
	v_fma_f32 v107, v11, v6, v107                              // 00000000B474: D1CB006B 05AE0D0B
	v_fma_f32 v112, v12, v6, v112                              // 00000000B47C: D1CB0070 05C20D0C
	v_fma_f32 v113, v13, v6, v113                              // 00000000B484: D1CB0071 05C60D0D
	v_fma_f32 v114, v14, v6, v114                              // 00000000B48C: D1CB0072 05CA0D0E
	v_fma_f32 v115, v15, v6, v115                              // 00000000B494: D1CB0073 05CE0D0F
	buffer_load_dword v40, s[20:23], 0 offen lds               // 00000000B49C: E0511000 80050028
	s_add_u32 m0, 0x300, s48                                   // 00000000B4A4: 807C30FF 00000300
	buffer_load_dword v41, s[20:23], 0 offen lds               // 00000000B4AC: E0511000 80050029
	s_add_u32 m0, 0, s49                                       // 00000000B4B4: 807C3180
	buffer_load_dword v32, v30, s[28:31], 0 offen              // 00000000B4B8: E0501000 8007201E
	buffer_load_dword v33, v31, s[28:31], 0 offen              // 00000000B4C0: E0501000 8007211F
	s_waitcnt vmcnt(23)                                        // 00000000B4C8: BF8C4F77
	s_barrier                                                  // 00000000B4CC: BF8A0000
	v_mul_f32_dpp v4, v28, v34 row_newbcast:0 row_mask:0xf bank_mask:0xf// 00000000B4D0: 0A0844FA FF01501C
	v_mfma_f32_16x16x32_fp8_fp8 v[8:11], a[32:33], a[16:17], 0 // 00000000B4D8: D3F30008 1A022120
	buffer_load_dword v29, v23, s[32:35], 0 offen              // 00000000B4E0: E0501000 80081D17
	buffer_load_dwordx4 a[160:163], v42, s[84:87], 0 offen     // 00000000B4E8: E05C1000 8095A02A
	v_mfma_f32_16x16x32_fp8_fp8 v[8:11], a[34:35], a[18:19], v[8:11]// 00000000B4F0: D3F30008 1C222522
	v_mfma_f32_16x16x32_fp8_fp8 v[8:11], a[36:37], a[20:21], v[8:11]// 00000000B4F8: D3F30008 1C222924
	ds_read_b128 a[0:3], v2 offset:8448                        // 00000000B500: DBFE2100 00000002
	ds_read_b128 a[4:7], v2 offset:8512                        // 00000000B508: DBFE2140 04000002
	v_mfma_f32_16x16x32_fp8_fp8 v[8:11], a[38:39], a[22:23], v[8:11]// 00000000B510: D3F30008 1C222D26
	v_mfma_f32_16x16x32_fp8_fp8 v[12:15], a[40:41], a[16:17], 0// 00000000B518: D3F3000C 1A022128
	buffer_load_dwordx4 a[164:167], v42, s[84:87], 0 offen offset:1024// 00000000B520: E05C1400 8095A42A
	v_mfma_f32_16x16x32_fp8_fp8 v[12:15], a[42:43], a[18:19], v[12:15]// 00000000B528: D3F3000C 1C32252A
	v_mfma_f32_16x16x32_fp8_fp8 v[12:15], a[44:45], a[20:21], v[12:15]// 00000000B530: D3F3000C 1C32292C
	ds_read_b128 a[8:11], v2 offset:8960                       // 00000000B538: DBFE2300 08000002
	ds_read_b128 a[12:15], v2 offset:9024                      // 00000000B540: DBFE2340 0C000002
	v_mfma_f32_16x16x32_fp8_fp8 v[12:15], a[46:47], a[22:23], v[12:15]// 00000000B548: D3F3000C 1C322D2E
	v_fma_f32 v116, v8, v4, v116                               // 00000000B550: D1CB0074 05D20908
	v_fma_f32 v117, v9, v4, v117                               // 00000000B558: D1CB0075 05D60909
	v_fma_f32 v118, v10, v4, v118                              // 00000000B560: D1CB0076 05DA090A
	v_fma_f32 v119, v11, v4, v119                              // 00000000B568: D1CB0077 05DE090B
	v_mul_f32_dpp v6, v28, v34 row_newbcast:1 row_mask:0xf bank_mask:0xf// 00000000B570: 0A0C44FA FF01511C
	v_mfma_f32_16x16x32_fp8_fp8 v[8:11], a[48:49], a[16:17], 0 // 00000000B578: D3F30008 1A022130
	buffer_load_dwordx4 a[168:171], v43, s[84:87], 0 offen     // 00000000B580: E05C1000 8095A82B
	v_mfma_f32_16x16x32_fp8_fp8 v[8:11], a[50:51], a[18:19], v[8:11]// 00000000B588: D3F30008 1C222532
	v_mfma_f32_16x16x32_fp8_fp8 v[8:11], a[52:53], a[20:21], v[8:11]// 00000000B590: D3F30008 1C222934
	v_mfma_f32_16x16x32_fp8_fp8 v[8:11], a[54:55], a[22:23], v[8:11]// 00000000B598: D3F30008 1C222D36
	v_fma_f32 v124, v12, v4, v124                              // 00000000B5A0: D1CB007C 05F2090C
	v_fma_f32 v125, v13, v4, v125                              // 00000000B5A8: D1CB007D 05F6090D
	v_fma_f32 v126, v14, v4, v126                              // 00000000B5B0: D1CB007E 05FA090E
	v_fma_f32 v127, v15, v4, v127                              // 00000000B5B8: D1CB007F 05FE090F
	v_mfma_f32_16x16x32_fp8_fp8 v[12:15], a[56:57], a[16:17], 0// 00000000B5C0: D3F3000C 1A022138
	buffer_load_dwordx4 a[172:175], v43, s[84:87], 0 offen offset:1024// 00000000B5C8: E05C1400 8095AC2B
	v_mfma_f32_16x16x32_fp8_fp8 v[12:15], a[58:59], a[18:19], v[12:15]// 00000000B5D0: D3F3000C 1C32253A
	v_mfma_f32_16x16x32_fp8_fp8 v[12:15], a[60:61], a[20:21], v[12:15]// 00000000B5D8: D3F3000C 1C32293C
	v_mfma_f32_16x16x32_fp8_fp8 v[12:15], a[62:63], a[22:23], v[12:15]// 00000000B5E0: D3F3000C 1C322D3E
	v_fma_f32 v132, v8, v6, v132                               // 00000000B5E8: D1CB0084 06120D08
	v_fma_f32 v133, v9, v6, v133                               // 00000000B5F0: D1CB0085 06160D09
	v_fma_f32 v134, v10, v6, v134                              // 00000000B5F8: D1CB0086 061A0D0A
	v_fma_f32 v135, v11, v6, v135                              // 00000000B600: D1CB0087 061E0D0B
	v_mul_f32_dpp v4, v28, v34 row_newbcast:2 row_mask:0xf bank_mask:0xf// 00000000B608: 0A0844FA FF01521C
	v_mfma_f32_16x16x32_fp8_fp8 v[8:11], a[64:65], a[16:17], 0 // 00000000B610: D3F30008 1A022140
	buffer_load_dwordx4 a[176:179], v44, s[84:87], 0 offen     // 00000000B618: E05C1000 8095B02C
	v_mfma_f32_16x16x32_fp8_fp8 v[8:11], a[66:67], a[18:19], v[8:11]// 00000000B620: D3F30008 1C222542
	v_mfma_f32_16x16x32_fp8_fp8 v[8:11], a[68:69], a[20:21], v[8:11]// 00000000B628: D3F30008 1C222944
	v_mfma_f32_16x16x32_fp8_fp8 v[8:11], a[70:71], a[22:23], v[8:11]// 00000000B630: D3F30008 1C222D46
	v_fma_f32 v140, v12, v6, v140                              // 00000000B638: D1CB008C 06320D0C
	v_fma_f32 v141, v13, v6, v141                              // 00000000B640: D1CB008D 06360D0D
	v_fma_f32 v142, v14, v6, v142                              // 00000000B648: D1CB008E 063A0D0E
	v_fma_f32 v143, v15, v6, v143                              // 00000000B650: D1CB008F 063E0D0F
	v_mfma_f32_16x16x32_fp8_fp8 v[12:15], a[72:73], a[16:17], 0// 00000000B658: D3F3000C 1A022148
	buffer_load_dwordx4 a[180:183], v44, s[84:87], 0 offen offset:1024// 00000000B660: E05C1400 8095B42C
	v_mfma_f32_16x16x32_fp8_fp8 v[12:15], a[74:75], a[18:19], v[12:15]// 00000000B668: D3F3000C 1C32254A
	v_mfma_f32_16x16x32_fp8_fp8 v[12:15], a[76:77], a[20:21], v[12:15]// 00000000B670: D3F3000C 1C32294C
	v_mfma_f32_16x16x32_fp8_fp8 v[12:15], a[78:79], a[22:23], v[12:15]// 00000000B678: D3F3000C 1C322D4E
	v_fma_f32 v148, v8, v4, v148                               // 00000000B680: D1CB0094 06520908
	v_fma_f32 v149, v9, v4, v149                               // 00000000B688: D1CB0095 06560909
	v_fma_f32 v150, v10, v4, v150                              // 00000000B690: D1CB0096 065A090A
	v_fma_f32 v151, v11, v4, v151                              // 00000000B698: D1CB0097 065E090B
	v_mul_f32_dpp v6, v28, v34 row_newbcast:3 row_mask:0xf bank_mask:0xf// 00000000B6A0: 0A0C44FA FF01531C
	v_mfma_f32_16x16x32_fp8_fp8 v[8:11], a[80:81], a[16:17], 0 // 00000000B6A8: D3F30008 1A022150
	buffer_load_dwordx4 a[184:187], v45, s[84:87], 0 offen     // 00000000B6B0: E05C1000 8095B82D
	v_mfma_f32_16x16x32_fp8_fp8 v[8:11], a[82:83], a[18:19], v[8:11]// 00000000B6B8: D3F30008 1C222552
	v_mfma_f32_16x16x32_fp8_fp8 v[8:11], a[84:85], a[20:21], v[8:11]// 00000000B6C0: D3F30008 1C222954
	v_mfma_f32_16x16x32_fp8_fp8 v[8:11], a[86:87], a[22:23], v[8:11]// 00000000B6C8: D3F30008 1C222D56
	v_fma_f32 v156, v12, v4, v156                              // 00000000B6D0: D1CB009C 0672090C
	v_fma_f32 v157, v13, v4, v157                              // 00000000B6D8: D1CB009D 0676090D
	v_fma_f32 v158, v14, v4, v158                              // 00000000B6E0: D1CB009E 067A090E
	v_fma_f32 v159, v15, v4, v159                              // 00000000B6E8: D1CB009F 067E090F
	v_mfma_f32_16x16x32_fp8_fp8 v[12:15], a[88:89], a[16:17], 0// 00000000B6F0: D3F3000C 1A022158
	buffer_load_dwordx4 a[188:191], v45, s[84:87], 0 offen offset:1024// 00000000B6F8: E05C1400 8095BC2D
	v_mfma_f32_16x16x32_fp8_fp8 v[12:15], a[90:91], a[18:19], v[12:15]// 00000000B700: D3F3000C 1C32255A
	v_mfma_f32_16x16x32_fp8_fp8 v[12:15], a[92:93], a[20:21], v[12:15]// 00000000B708: D3F3000C 1C32295C
	v_mfma_f32_16x16x32_fp8_fp8 v[12:15], a[94:95], a[22:23], v[12:15]// 00000000B710: D3F3000C 1C322D5E
	v_fma_f32 v164, v8, v6, v164                               // 00000000B718: D1CB00A4 06920D08
	v_fma_f32 v165, v9, v6, v165                               // 00000000B720: D1CB00A5 06960D09
	v_fma_f32 v166, v10, v6, v166                              // 00000000B728: D1CB00A6 069A0D0A
	v_fma_f32 v167, v11, v6, v167                              // 00000000B730: D1CB00A7 069E0D0B
	v_mul_f32_dpp v4, v28, v35 row_newbcast:0 row_mask:0xf bank_mask:0xf// 00000000B738: 0A0846FA FF01501C
	v_mfma_f32_16x16x32_fp8_fp8 v[8:11], a[32:33], a[24:25], 0 // 00000000B740: D3F30008 1A023120
	buffer_load_dwordx4 a[192:195], v46, s[84:87], 0 offen     // 00000000B748: E05C1000 8095C02E
	v_mfma_f32_16x16x32_fp8_fp8 v[8:11], a[34:35], a[26:27], v[8:11]// 00000000B750: D3F30008 1C223522
	v_mfma_f32_16x16x32_fp8_fp8 v[8:11], a[36:37], a[28:29], v[8:11]// 00000000B758: D3F30008 1C223924
	v_mfma_f32_16x16x32_fp8_fp8 v[8:11], a[38:39], a[30:31], v[8:11]// 00000000B760: D3F30008 1C223D26
	v_fma_f32 v172, v12, v6, v172                              // 00000000B768: D1CB00AC 06B20D0C
	v_fma_f32 v173, v13, v6, v173                              // 00000000B770: D1CB00AD 06B60D0D
	v_fma_f32 v174, v14, v6, v174                              // 00000000B778: D1CB00AE 06BA0D0E
	v_fma_f32 v175, v15, v6, v175                              // 00000000B780: D1CB00AF 06BE0D0F
	v_mfma_f32_16x16x32_fp8_fp8 v[12:15], a[40:41], a[24:25], 0// 00000000B788: D3F3000C 1A023128
	buffer_load_dwordx4 a[196:199], v46, s[84:87], 0 offen offset:1024// 00000000B790: E05C1400 8095C42E
	v_mfma_f32_16x16x32_fp8_fp8 v[12:15], a[42:43], a[26:27], v[12:15]// 00000000B798: D3F3000C 1C32352A
	v_mfma_f32_16x16x32_fp8_fp8 v[12:15], a[44:45], a[28:29], v[12:15]// 00000000B7A0: D3F3000C 1C32392C
	v_mfma_f32_16x16x32_fp8_fp8 v[12:15], a[46:47], a[30:31], v[12:15]// 00000000B7A8: D3F3000C 1C323D2E
	v_fma_f32 v120, v8, v4, v120                               // 00000000B7B0: D1CB0078 05E20908
	v_fma_f32 v121, v9, v4, v121                               // 00000000B7B8: D1CB0079 05E60909
	v_fma_f32 v122, v10, v4, v122                              // 00000000B7C0: D1CB007A 05EA090A
	v_fma_f32 v123, v11, v4, v123                              // 00000000B7C8: D1CB007B 05EE090B
	v_mul_f32_dpp v6, v28, v35 row_newbcast:1 row_mask:0xf bank_mask:0xf// 00000000B7D0: 0A0C46FA FF01511C
	v_mfma_f32_16x16x32_fp8_fp8 v[8:11], a[48:49], a[24:25], 0 // 00000000B7D8: D3F30008 1A023130
	buffer_load_dwordx4 a[200:203], v47, s[84:87], 0 offen     // 00000000B7E0: E05C1000 8095C82F
	v_mfma_f32_16x16x32_fp8_fp8 v[8:11], a[50:51], a[26:27], v[8:11]// 00000000B7E8: D3F30008 1C223532
	v_mfma_f32_16x16x32_fp8_fp8 v[8:11], a[52:53], a[28:29], v[8:11]// 00000000B7F0: D3F30008 1C223934
	v_mfma_f32_16x16x32_fp8_fp8 v[8:11], a[54:55], a[30:31], v[8:11]// 00000000B7F8: D3F30008 1C223D36
	v_fma_f32 v128, v12, v4, v128                              // 00000000B800: D1CB0080 0602090C
	v_fma_f32 v129, v13, v4, v129                              // 00000000B808: D1CB0081 0606090D
	v_fma_f32 v130, v14, v4, v130                              // 00000000B810: D1CB0082 060A090E
	v_fma_f32 v131, v15, v4, v131                              // 00000000B818: D1CB0083 060E090F
	v_mfma_f32_16x16x32_fp8_fp8 v[12:15], a[56:57], a[24:25], 0// 00000000B820: D3F3000C 1A023138
	buffer_load_dwordx4 a[204:207], v47, s[84:87], 0 offen offset:1024// 00000000B828: E05C1400 8095CC2F
	v_mfma_f32_16x16x32_fp8_fp8 v[12:15], a[58:59], a[26:27], v[12:15]// 00000000B830: D3F3000C 1C32353A
	v_mfma_f32_16x16x32_fp8_fp8 v[12:15], a[60:61], a[28:29], v[12:15]// 00000000B838: D3F3000C 1C32393C
	v_mfma_f32_16x16x32_fp8_fp8 v[12:15], a[62:63], a[30:31], v[12:15]// 00000000B840: D3F3000C 1C323D3E
	v_fma_f32 v136, v8, v6, v136                               // 00000000B848: D1CB0088 06220D08
	v_fma_f32 v137, v9, v6, v137                               // 00000000B850: D1CB0089 06260D09
	v_fma_f32 v138, v10, v6, v138                              // 00000000B858: D1CB008A 062A0D0A
	v_fma_f32 v139, v11, v6, v139                              // 00000000B860: D1CB008B 062E0D0B
	v_mul_f32_dpp v4, v28, v35 row_newbcast:2 row_mask:0xf bank_mask:0xf// 00000000B868: 0A0846FA FF01521C
	v_mfma_f32_16x16x32_fp8_fp8 v[8:11], a[64:65], a[24:25], 0 // 00000000B870: D3F30008 1A023140
	buffer_load_dwordx4 a[208:211], v48, s[84:87], 0 offen     // 00000000B878: E05C1000 8095D030
	v_mfma_f32_16x16x32_fp8_fp8 v[8:11], a[66:67], a[26:27], v[8:11]// 00000000B880: D3F30008 1C223542
	v_mfma_f32_16x16x32_fp8_fp8 v[8:11], a[68:69], a[28:29], v[8:11]// 00000000B888: D3F30008 1C223944
	v_mfma_f32_16x16x32_fp8_fp8 v[8:11], a[70:71], a[30:31], v[8:11]// 00000000B890: D3F30008 1C223D46
	v_fma_f32 v144, v12, v6, v144                              // 00000000B898: D1CB0090 06420D0C
	v_fma_f32 v145, v13, v6, v145                              // 00000000B8A0: D1CB0091 06460D0D
	v_fma_f32 v146, v14, v6, v146                              // 00000000B8A8: D1CB0092 064A0D0E
	v_fma_f32 v147, v15, v6, v147                              // 00000000B8B0: D1CB0093 064E0D0F
	v_mfma_f32_16x16x32_fp8_fp8 v[12:15], a[72:73], a[24:25], 0// 00000000B8B8: D3F3000C 1A023148
	buffer_load_dwordx4 a[212:215], v48, s[84:87], 0 offen offset:1024// 00000000B8C0: E05C1400 8095D430
	v_mfma_f32_16x16x32_fp8_fp8 v[12:15], a[74:75], a[26:27], v[12:15]// 00000000B8C8: D3F3000C 1C32354A
	v_mfma_f32_16x16x32_fp8_fp8 v[12:15], a[76:77], a[28:29], v[12:15]// 00000000B8D0: D3F3000C 1C32394C
	v_mfma_f32_16x16x32_fp8_fp8 v[12:15], a[78:79], a[30:31], v[12:15]// 00000000B8D8: D3F3000C 1C323D4E
	v_fma_f32 v152, v8, v4, v152                               // 00000000B8E0: D1CB0098 06620908
	v_fma_f32 v153, v9, v4, v153                               // 00000000B8E8: D1CB0099 06660909
	v_fma_f32 v154, v10, v4, v154                              // 00000000B8F0: D1CB009A 066A090A
	v_fma_f32 v155, v11, v4, v155                              // 00000000B8F8: D1CB009B 066E090B
	v_mul_f32_dpp v6, v28, v35 row_newbcast:3 row_mask:0xf bank_mask:0xf// 00000000B900: 0A0C46FA FF01531C
	v_mfma_f32_16x16x32_fp8_fp8 v[8:11], a[80:81], a[24:25], 0 // 00000000B908: D3F30008 1A023150
	buffer_load_dwordx4 a[216:219], v49, s[84:87], 0 offen     // 00000000B910: E05C1000 8095D831
	s_add_u32 s60, 0x180, s80                                  // 00000000B918: 803C50FF 00000180
	s_cmp_lt_u32 s60, s81                                      // 00000000B920: BF0A513C
	s_cselect_b32 s57, s57, 0                                  // 00000000B924: 85398039
	s_cselect_b32 s3, s3, 0                                    // 00000000B928: 85038003
	v_mfma_f32_16x16x32_fp8_fp8 v[8:11], a[82:83], a[26:27], v[8:11]// 00000000B92C: D3F30008 1C223552
	s_add_u32 s60, 0x100, s80                                  // 00000000B934: 803C50FF 00000100
	s_cmp_lt_u32 s60, s81                                      // 00000000B93C: BF0A513C
	s_cselect_b32 s58, s58, 0                                  // 00000000B940: 853A803A
	v_mfma_f32_16x16x32_fp8_fp8 v[8:11], a[84:85], a[28:29], v[8:11]// 00000000B944: D3F30008 1C223954
	s_add_u32 s60, 0x100, s80                                  // 00000000B94C: 803C50FF 00000100
	s_cmp_lt_u32 s60, s81                                      // 00000000B954: BF0A513C
	s_cselect_b32 s83, s83, 0                                  // 00000000B958: 85538053
	s_cselect_b32 s4, s4, 0                                    // 00000000B95C: 85048004
	v_mfma_f32_16x16x32_fp8_fp8 v[8:11], a[86:87], a[30:31], v[8:11]// 00000000B960: D3F30008 1C223D56
	s_add_u32 s24, s58, s24                                    // 00000000B968: 8018183A
	s_addc_u32 s25, 0, s25                                     // 00000000B96C: 82191980
	v_fma_f32 v160, v12, v4, v160                              // 00000000B970: D1CB00A0 0682090C
	v_fma_f32 v161, v13, v4, v161                              // 00000000B978: D1CB00A1 0686090D
	v_fma_f32 v162, v14, v4, v162                              // 00000000B980: D1CB00A2 068A090E
	v_fma_f32 v163, v15, v4, v163                              // 00000000B988: D1CB00A3 068E090F
	v_mfma_f32_16x16x32_fp8_fp8 v[12:15], a[88:89], a[24:25], 0// 00000000B990: D3F3000C 1A023158
	buffer_load_dwordx4 a[220:223], v49, s[84:87], 0 offen offset:1024// 00000000B998: E05C1400 8095DC31
	s_add_u32 s20, s57, s20                                    // 00000000B9A0: 80141439
	s_addc_u32 s21, 0, s21                                     // 00000000B9A4: 82151580
	s_add_u32 s28, s3, s28                                     // 00000000B9A8: 801C1C03
	s_addc_u32 s29, 0, s29                                     // 00000000B9AC: 821D1D80
	v_mfma_f32_16x16x32_fp8_fp8 v[12:15], a[90:91], a[26:27], v[12:15]// 00000000B9B0: D3F3000C 1C32355A
	s_add_u32 s84, s83, s84                                    // 00000000B9B8: 80545453
	s_addc_u32 s85, 0, s85                                     // 00000000B9BC: 82555580
	v_mfma_f32_16x16x32_fp8_fp8 v[12:15], a[92:93], a[28:29], v[12:15]// 00000000B9C0: D3F3000C 1C32395C
	s_add_u32 s32, s4, s32                                     // 00000000B9C8: 80202004
	s_addc_u32 s33, 0, s33                                     // 00000000B9CC: 82212180
	v_mfma_f32_16x16x32_fp8_fp8 v[12:15], a[94:95], a[30:31], v[12:15]// 00000000B9D0: D3F3000C 1C323D5E
	v_fma_f32 v168, v8, v6, v168                               // 00000000B9D8: D1CB00A8 06A20D08
	v_fma_f32 v169, v9, v6, v169                               // 00000000B9E0: D1CB00A9 06A60D09
	v_fma_f32 v170, v10, v6, v170                              // 00000000B9E8: D1CB00AA 06AA0D0A
	v_fma_f32 v171, v11, v6, v171                              // 00000000B9F0: D1CB00AB 06AE0D0B
	v_fma_f32 v176, v12, v6, v176                              // 00000000B9F8: D1CB00B0 06C20D0C
	v_fma_f32 v177, v13, v6, v177                              // 00000000BA00: D1CB00B1 06C60D0D
	v_fma_f32 v178, v14, v6, v178                              // 00000000BA08: D1CB00B2 06CA0D0E
	v_fma_f32 v179, v15, v6, v179                              // 00000000BA10: D1CB00B3 06CE0D0F
	s_addk_i32 s80, 0x80                                       // 00000000BA18: B7500080
	s_cmp_lt_i32 s80, s81                                      // 00000000BA1C: BF045150
	s_cbranch_scc0 label_2E81                                  // 00000000BA20: BF840A75
	s_waitcnt vmcnt(23) lgkmcnt(0)                             // 00000000BA24: BF8C4077
	v_mul_f32_dpp v4, v26, v36 row_newbcast:0 row_mask:0xf bank_mask:0xf// 00000000BA28: 0A0848FA FF01501A
	v_mfma_f32_16x16x32_fp8_fp8 v[8:11], a[96:97], a[0:1], 0   // 00000000BA30: D3F30008 1A020160
	buffer_load_dword v24, v22, s[32:35], 0 offen              // 00000000BA38: E0501000 80081816
	buffer_load_dwordx4 a[32:35], v42, s[24:27], 0 offen       // 00000000BA40: E05C1000 8086202A
	v_mfma_f32_16x16x32_fp8_fp8 v[8:11], a[98:99], a[2:3], v[8:11]// 00000000BA48: D3F30008 1C220562
	v_mfma_f32_16x16x32_fp8_fp8 v[8:11], a[100:101], a[4:5], v[8:11]// 00000000BA50: D3F30008 1C220964
	v_mfma_f32_16x16x32_fp8_fp8 v[8:11], a[102:103], a[6:7], v[8:11]// 00000000BA58: D3F30008 1C220D66
	v_mfma_f32_16x16x32_fp8_fp8 v[12:15], a[104:105], a[0:1], 0// 00000000BA60: D3F3000C 1A020168
	buffer_load_dwordx4 a[36:39], v42, s[24:27], 0 offen offset:1024// 00000000BA68: E05C1400 8086242A
	v_mfma_f32_16x16x32_fp8_fp8 v[12:15], a[106:107], a[2:3], v[12:15]// 00000000BA70: D3F3000C 1C32056A
	v_mfma_f32_16x16x32_fp8_fp8 v[12:15], a[108:109], a[4:5], v[12:15]// 00000000BA78: D3F3000C 1C32096C
	v_mfma_f32_16x16x32_fp8_fp8 v[12:15], a[110:111], a[6:7], v[12:15]// 00000000BA80: D3F3000C 1C320D6E
	v_fma_f32 v52, v8, v4, v52                                 // 00000000BA88: D1CB0034 04D20908
	v_fma_f32 v53, v9, v4, v53                                 // 00000000BA90: D1CB0035 04D60909
	v_fma_f32 v54, v10, v4, v54                                // 00000000BA98: D1CB0036 04DA090A
	v_fma_f32 v55, v11, v4, v55                                // 00000000BAA0: D1CB0037 04DE090B
	v_mul_f32_dpp v6, v26, v36 row_newbcast:1 row_mask:0xf bank_mask:0xf// 00000000BAA8: 0A0C48FA FF01511A
	v_mfma_f32_16x16x32_fp8_fp8 v[8:11], a[112:113], a[0:1], 0 // 00000000BAB0: D3F30008 1A020170
	buffer_load_dwordx4 a[40:43], v43, s[24:27], 0 offen       // 00000000BAB8: E05C1000 8086282B
	v_mfma_f32_16x16x32_fp8_fp8 v[8:11], a[114:115], a[2:3], v[8:11]// 00000000BAC0: D3F30008 1C220572
	v_mfma_f32_16x16x32_fp8_fp8 v[8:11], a[116:117], a[4:5], v[8:11]// 00000000BAC8: D3F30008 1C220974
	v_mfma_f32_16x16x32_fp8_fp8 v[8:11], a[118:119], a[6:7], v[8:11]// 00000000BAD0: D3F30008 1C220D76
	v_fma_f32 v60, v12, v4, v60                                // 00000000BAD8: D1CB003C 04F2090C
	v_fma_f32 v61, v13, v4, v61                                // 00000000BAE0: D1CB003D 04F6090D
	v_fma_f32 v62, v14, v4, v62                                // 00000000BAE8: D1CB003E 04FA090E
	v_fma_f32 v63, v15, v4, v63                                // 00000000BAF0: D1CB003F 04FE090F
	v_mfma_f32_16x16x32_fp8_fp8 v[12:15], a[120:121], a[0:1], 0// 00000000BAF8: D3F3000C 1A020178
	buffer_load_dwordx4 a[44:47], v43, s[24:27], 0 offen offset:1024// 00000000BB00: E05C1400 80862C2B
	v_mfma_f32_16x16x32_fp8_fp8 v[12:15], a[122:123], a[2:3], v[12:15]// 00000000BB08: D3F3000C 1C32057A
	v_mfma_f32_16x16x32_fp8_fp8 v[12:15], a[124:125], a[4:5], v[12:15]// 00000000BB10: D3F3000C 1C32097C
	v_mfma_f32_16x16x32_fp8_fp8 v[12:15], a[126:127], a[6:7], v[12:15]// 00000000BB18: D3F3000C 1C320D7E
	v_fma_f32 v68, v8, v6, v68                                 // 00000000BB20: D1CB0044 05120D08
	v_fma_f32 v69, v9, v6, v69                                 // 00000000BB28: D1CB0045 05160D09
	v_fma_f32 v70, v10, v6, v70                                // 00000000BB30: D1CB0046 051A0D0A
	v_fma_f32 v71, v11, v6, v71                                // 00000000BB38: D1CB0047 051E0D0B
	v_mul_f32_dpp v4, v26, v36 row_newbcast:2 row_mask:0xf bank_mask:0xf// 00000000BB40: 0A0848FA FF01521A
	v_mfma_f32_16x16x32_fp8_fp8 v[8:11], a[128:129], a[0:1], 0 // 00000000BB48: D3F30008 1A020180
	buffer_load_dwordx4 a[48:51], v44, s[24:27], 0 offen       // 00000000BB50: E05C1000 8086302C
	v_mfma_f32_16x16x32_fp8_fp8 v[8:11], a[130:131], a[2:3], v[8:11]// 00000000BB58: D3F30008 1C220582
	v_mfma_f32_16x16x32_fp8_fp8 v[8:11], a[132:133], a[4:5], v[8:11]// 00000000BB60: D3F30008 1C220984
	v_mfma_f32_16x16x32_fp8_fp8 v[8:11], a[134:135], a[6:7], v[8:11]// 00000000BB68: D3F30008 1C220D86
	v_fma_f32 v76, v12, v6, v76                                // 00000000BB70: D1CB004C 05320D0C
	v_fma_f32 v77, v13, v6, v77                                // 00000000BB78: D1CB004D 05360D0D
	v_fma_f32 v78, v14, v6, v78                                // 00000000BB80: D1CB004E 053A0D0E
	v_fma_f32 v79, v15, v6, v79                                // 00000000BB88: D1CB004F 053E0D0F
	v_mfma_f32_16x16x32_fp8_fp8 v[12:15], a[136:137], a[0:1], 0// 00000000BB90: D3F3000C 1A020188
	buffer_load_dwordx4 a[52:55], v44, s[24:27], 0 offen offset:1024// 00000000BB98: E05C1400 8086342C
	v_mfma_f32_16x16x32_fp8_fp8 v[12:15], a[138:139], a[2:3], v[12:15]// 00000000BBA0: D3F3000C 1C32058A
	v_mfma_f32_16x16x32_fp8_fp8 v[12:15], a[140:141], a[4:5], v[12:15]// 00000000BBA8: D3F3000C 1C32098C
	v_mfma_f32_16x16x32_fp8_fp8 v[12:15], a[142:143], a[6:7], v[12:15]// 00000000BBB0: D3F3000C 1C320D8E
	v_fma_f32 v84, v8, v4, v84                                 // 00000000BBB8: D1CB0054 05520908
	v_fma_f32 v85, v9, v4, v85                                 // 00000000BBC0: D1CB0055 05560909
	v_fma_f32 v86, v10, v4, v86                                // 00000000BBC8: D1CB0056 055A090A
	v_fma_f32 v87, v11, v4, v87                                // 00000000BBD0: D1CB0057 055E090B
	v_mul_f32_dpp v6, v26, v36 row_newbcast:3 row_mask:0xf bank_mask:0xf// 00000000BBD8: 0A0C48FA FF01531A
	v_mfma_f32_16x16x32_fp8_fp8 v[8:11], a[144:145], a[0:1], 0 // 00000000BBE0: D3F30008 1A020190
	buffer_load_dwordx4 a[56:59], v45, s[24:27], 0 offen       // 00000000BBE8: E05C1000 8086382D
	v_mfma_f32_16x16x32_fp8_fp8 v[8:11], a[146:147], a[2:3], v[8:11]// 00000000BBF0: D3F30008 1C220592
	v_mfma_f32_16x16x32_fp8_fp8 v[8:11], a[148:149], a[4:5], v[8:11]// 00000000BBF8: D3F30008 1C220994
	v_mfma_f32_16x16x32_fp8_fp8 v[8:11], a[150:151], a[6:7], v[8:11]// 00000000BC00: D3F30008 1C220D96
	v_fma_f32 v92, v12, v4, v92                                // 00000000BC08: D1CB005C 0572090C
	v_fma_f32 v93, v13, v4, v93                                // 00000000BC10: D1CB005D 0576090D
	v_fma_f32 v94, v14, v4, v94                                // 00000000BC18: D1CB005E 057A090E
	v_fma_f32 v95, v15, v4, v95                                // 00000000BC20: D1CB005F 057E090F
	v_mfma_f32_16x16x32_fp8_fp8 v[12:15], a[152:153], a[0:1], 0// 00000000BC28: D3F3000C 1A020198
	buffer_load_dwordx4 a[60:63], v45, s[24:27], 0 offen offset:1024// 00000000BC30: E05C1400 80863C2D
	v_mfma_f32_16x16x32_fp8_fp8 v[12:15], a[154:155], a[2:3], v[12:15]// 00000000BC38: D3F3000C 1C32059A
	v_mfma_f32_16x16x32_fp8_fp8 v[12:15], a[156:157], a[4:5], v[12:15]// 00000000BC40: D3F3000C 1C32099C
	v_mfma_f32_16x16x32_fp8_fp8 v[12:15], a[158:159], a[6:7], v[12:15]// 00000000BC48: D3F3000C 1C320D9E
	v_fma_f32 v100, v8, v6, v100                               // 00000000BC50: D1CB0064 05920D08
	v_fma_f32 v101, v9, v6, v101                               // 00000000BC58: D1CB0065 05960D09
	v_fma_f32 v102, v10, v6, v102                              // 00000000BC60: D1CB0066 059A0D0A
	v_fma_f32 v103, v11, v6, v103                              // 00000000BC68: D1CB0067 059E0D0B
	v_mul_f32_dpp v4, v26, v37 row_newbcast:0 row_mask:0xf bank_mask:0xf// 00000000BC70: 0A084AFA FF01501A
	v_mfma_f32_16x16x32_fp8_fp8 v[8:11], a[96:97], a[8:9], 0   // 00000000BC78: D3F30008 1A021160
	buffer_load_dwordx4 a[64:67], v46, s[24:27], 0 offen       // 00000000BC80: E05C1000 8086402E
	v_mfma_f32_16x16x32_fp8_fp8 v[8:11], a[98:99], a[10:11], v[8:11]// 00000000BC88: D3F30008 1C221562
	v_mfma_f32_16x16x32_fp8_fp8 v[8:11], a[100:101], a[12:13], v[8:11]// 00000000BC90: D3F30008 1C221964
	v_mfma_f32_16x16x32_fp8_fp8 v[8:11], a[102:103], a[14:15], v[8:11]// 00000000BC98: D3F30008 1C221D66
	v_fma_f32 v108, v12, v6, v108                              // 00000000BCA0: D1CB006C 05B20D0C
	v_fma_f32 v109, v13, v6, v109                              // 00000000BCA8: D1CB006D 05B60D0D
	v_fma_f32 v110, v14, v6, v110                              // 00000000BCB0: D1CB006E 05BA0D0E
	v_fma_f32 v111, v15, v6, v111                              // 00000000BCB8: D1CB006F 05BE0D0F
	v_mfma_f32_16x16x32_fp8_fp8 v[12:15], a[104:105], a[8:9], 0// 00000000BCC0: D3F3000C 1A021168
	buffer_load_dwordx4 a[68:71], v46, s[24:27], 0 offen offset:1024// 00000000BCC8: E05C1400 8086442E
	v_mfma_f32_16x16x32_fp8_fp8 v[12:15], a[106:107], a[10:11], v[12:15]// 00000000BCD0: D3F3000C 1C32156A
	v_mfma_f32_16x16x32_fp8_fp8 v[12:15], a[108:109], a[12:13], v[12:15]// 00000000BCD8: D3F3000C 1C32196C
	v_mfma_f32_16x16x32_fp8_fp8 v[12:15], a[110:111], a[14:15], v[12:15]// 00000000BCE0: D3F3000C 1C321D6E
	v_fma_f32 v56, v8, v4, v56                                 // 00000000BCE8: D1CB0038 04E20908
	v_fma_f32 v57, v9, v4, v57                                 // 00000000BCF0: D1CB0039 04E60909
	v_fma_f32 v58, v10, v4, v58                                // 00000000BCF8: D1CB003A 04EA090A
	v_fma_f32 v59, v11, v4, v59                                // 00000000BD00: D1CB003B 04EE090B
	v_mul_f32_dpp v6, v26, v37 row_newbcast:1 row_mask:0xf bank_mask:0xf// 00000000BD08: 0A0C4AFA FF01511A
	v_mfma_f32_16x16x32_fp8_fp8 v[8:11], a[112:113], a[8:9], 0 // 00000000BD10: D3F30008 1A021170
	buffer_load_dwordx4 a[72:75], v47, s[24:27], 0 offen       // 00000000BD18: E05C1000 8086482F
	v_mfma_f32_16x16x32_fp8_fp8 v[8:11], a[114:115], a[10:11], v[8:11]// 00000000BD20: D3F30008 1C221572
	v_mfma_f32_16x16x32_fp8_fp8 v[8:11], a[116:117], a[12:13], v[8:11]// 00000000BD28: D3F30008 1C221974
	v_mfma_f32_16x16x32_fp8_fp8 v[8:11], a[118:119], a[14:15], v[8:11]// 00000000BD30: D3F30008 1C221D76
	v_fma_f32 v64, v12, v4, v64                                // 00000000BD38: D1CB0040 0502090C
	v_fma_f32 v65, v13, v4, v65                                // 00000000BD40: D1CB0041 0506090D
	v_fma_f32 v66, v14, v4, v66                                // 00000000BD48: D1CB0042 050A090E
	v_fma_f32 v67, v15, v4, v67                                // 00000000BD50: D1CB0043 050E090F
	v_mfma_f32_16x16x32_fp8_fp8 v[12:15], a[120:121], a[8:9], 0// 00000000BD58: D3F3000C 1A021178
	buffer_load_dwordx4 a[76:79], v47, s[24:27], 0 offen offset:1024// 00000000BD60: E05C1400 80864C2F
	v_mfma_f32_16x16x32_fp8_fp8 v[12:15], a[122:123], a[10:11], v[12:15]// 00000000BD68: D3F3000C 1C32157A
	v_mfma_f32_16x16x32_fp8_fp8 v[12:15], a[124:125], a[12:13], v[12:15]// 00000000BD70: D3F3000C 1C32197C
	v_mfma_f32_16x16x32_fp8_fp8 v[12:15], a[126:127], a[14:15], v[12:15]// 00000000BD78: D3F3000C 1C321D7E
	v_fma_f32 v72, v8, v6, v72                                 // 00000000BD80: D1CB0048 05220D08
	v_fma_f32 v73, v9, v6, v73                                 // 00000000BD88: D1CB0049 05260D09
	v_fma_f32 v74, v10, v6, v74                                // 00000000BD90: D1CB004A 052A0D0A
	v_fma_f32 v75, v11, v6, v75                                // 00000000BD98: D1CB004B 052E0D0B
	v_mul_f32_dpp v4, v26, v37 row_newbcast:2 row_mask:0xf bank_mask:0xf// 00000000BDA0: 0A084AFA FF01521A
	v_mfma_f32_16x16x32_fp8_fp8 v[8:11], a[128:129], a[8:9], 0 // 00000000BDA8: D3F30008 1A021180
	buffer_load_dwordx4 a[80:83], v48, s[24:27], 0 offen       // 00000000BDB0: E05C1000 80865030
	v_mfma_f32_16x16x32_fp8_fp8 v[8:11], a[130:131], a[10:11], v[8:11]// 00000000BDB8: D3F30008 1C221582
	v_mfma_f32_16x16x32_fp8_fp8 v[8:11], a[132:133], a[12:13], v[8:11]// 00000000BDC0: D3F30008 1C221984
	v_mfma_f32_16x16x32_fp8_fp8 v[8:11], a[134:135], a[14:15], v[8:11]// 00000000BDC8: D3F30008 1C221D86
	v_fma_f32 v80, v12, v6, v80                                // 00000000BDD0: D1CB0050 05420D0C
	v_fma_f32 v81, v13, v6, v81                                // 00000000BDD8: D1CB0051 05460D0D
	v_fma_f32 v82, v14, v6, v82                                // 00000000BDE0: D1CB0052 054A0D0E
	v_fma_f32 v83, v15, v6, v83                                // 00000000BDE8: D1CB0053 054E0D0F
	v_mfma_f32_16x16x32_fp8_fp8 v[12:15], a[136:137], a[8:9], 0// 00000000BDF0: D3F3000C 1A021188
	buffer_load_dwordx4 a[84:87], v48, s[24:27], 0 offen offset:1024// 00000000BDF8: E05C1400 80865430
	v_mfma_f32_16x16x32_fp8_fp8 v[12:15], a[138:139], a[10:11], v[12:15]// 00000000BE00: D3F3000C 1C32158A
	v_mfma_f32_16x16x32_fp8_fp8 v[12:15], a[140:141], a[12:13], v[12:15]// 00000000BE08: D3F3000C 1C32198C
	v_mfma_f32_16x16x32_fp8_fp8 v[12:15], a[142:143], a[14:15], v[12:15]// 00000000BE10: D3F3000C 1C321D8E
	v_fma_f32 v88, v8, v4, v88                                 // 00000000BE18: D1CB0058 05620908
	v_fma_f32 v89, v9, v4, v89                                 // 00000000BE20: D1CB0059 05660909
	v_fma_f32 v90, v10, v4, v90                                // 00000000BE28: D1CB005A 056A090A
	v_fma_f32 v91, v11, v4, v91                                // 00000000BE30: D1CB005B 056E090B
	v_mul_f32_dpp v6, v26, v37 row_newbcast:3 row_mask:0xf bank_mask:0xf// 00000000BE38: 0A0C4AFA FF01531A
	v_mfma_f32_16x16x32_fp8_fp8 v[8:11], a[144:145], a[8:9], 0 // 00000000BE40: D3F30008 1A021190
	buffer_load_dwordx4 a[88:91], v49, s[24:27], 0 offen       // 00000000BE48: E05C1000 80865831
	v_mfma_f32_16x16x32_fp8_fp8 v[8:11], a[146:147], a[10:11], v[8:11]// 00000000BE50: D3F30008 1C221592
	v_mfma_f32_16x16x32_fp8_fp8 v[8:11], a[148:149], a[12:13], v[8:11]// 00000000BE58: D3F30008 1C221994
	v_mfma_f32_16x16x32_fp8_fp8 v[8:11], a[150:151], a[14:15], v[8:11]// 00000000BE60: D3F30008 1C221D96
	v_fma_f32 v96, v12, v4, v96                                // 00000000BE68: D1CB0060 0582090C
	v_fma_f32 v97, v13, v4, v97                                // 00000000BE70: D1CB0061 0586090D
	v_fma_f32 v98, v14, v4, v98                                // 00000000BE78: D1CB0062 058A090E
	v_fma_f32 v99, v15, v4, v99                                // 00000000BE80: D1CB0063 058E090F
	v_mfma_f32_16x16x32_fp8_fp8 v[12:15], a[152:153], a[8:9], 0// 00000000BE88: D3F3000C 1A021198
	buffer_load_dwordx4 a[92:95], v49, s[24:27], 0 offen offset:1024// 00000000BE90: E05C1400 80865C31
	buffer_load_dword v38, s[20:23], 0 offen lds               // 00000000BE98: E0511000 80050026
	s_add_u32 m0, 0x100, s49                                   // 00000000BEA0: 807C31FF 00000100
	v_mfma_f32_16x16x32_fp8_fp8 v[12:15], a[154:155], a[10:11], v[12:15]// 00000000BEA8: D3F3000C 1C32159A
	v_mfma_f32_16x16x32_fp8_fp8 v[12:15], a[156:157], a[12:13], v[12:15]// 00000000BEB0: D3F3000C 1C32199C
	buffer_load_dword v39, s[20:23], 0 offen lds               // 00000000BEB8: E0511000 80050027
	s_add_u32 m0, 0x200, s49                                   // 00000000BEC0: 807C31FF 00000200
	v_mfma_f32_16x16x32_fp8_fp8 v[12:15], a[158:159], a[14:15], v[12:15]// 00000000BEC8: D3F3000C 1C321D9E
	v_fma_f32 v104, v8, v6, v104                               // 00000000BED0: D1CB0068 05A20D08
	v_fma_f32 v105, v9, v6, v105                               // 00000000BED8: D1CB0069 05A60D09
	v_fma_f32 v106, v10, v6, v106                              // 00000000BEE0: D1CB006A 05AA0D0A
	v_fma_f32 v107, v11, v6, v107                              // 00000000BEE8: D1CB006B 05AE0D0B
	v_fma_f32 v112, v12, v6, v112                              // 00000000BEF0: D1CB0070 05C20D0C
	v_fma_f32 v113, v13, v6, v113                              // 00000000BEF8: D1CB0071 05C60D0D
	v_fma_f32 v114, v14, v6, v114                              // 00000000BF00: D1CB0072 05CA0D0E
	v_fma_f32 v115, v15, v6, v115                              // 00000000BF08: D1CB0073 05CE0D0F
	buffer_load_dword v40, s[20:23], 0 offen lds               // 00000000BF10: E0511000 80050028
	s_add_u32 m0, 0x300, s49                                   // 00000000BF18: 807C31FF 00000300
	buffer_load_dword v41, s[20:23], 0 offen lds               // 00000000BF20: E0511000 80050029
	s_add_u32 m0, 0, s50                                       // 00000000BF28: 807C3280
	buffer_load_dword v34, v30, s[28:31], 0 offen              // 00000000BF2C: E0501000 8007221E
	buffer_load_dword v35, v31, s[28:31], 0 offen              // 00000000BF34: E0501000 8007231F
	s_waitcnt vmcnt(23)                                        // 00000000BF3C: BF8C4F77
	s_barrier                                                  // 00000000BF40: BF8A0000
	v_mul_f32_dpp v4, v29, v36 row_newbcast:0 row_mask:0xf bank_mask:0xf// 00000000BF44: 0A0848FA FF01501D
	v_mfma_f32_16x16x32_fp8_fp8 v[8:11], a[160:161], a[0:1], 0 // 00000000BF4C: D3F30008 1A0201A0
	buffer_load_dword v27, v23, s[32:35], 0 offen              // 00000000BF54: E0501000 80081B17
	buffer_load_dwordx4 a[96:99], v42, s[84:87], 0 offen       // 00000000BF5C: E05C1000 8095602A
	v_mfma_f32_16x16x32_fp8_fp8 v[8:11], a[162:163], a[2:3], v[8:11]// 00000000BF64: D3F30008 1C2205A2
	v_mfma_f32_16x16x32_fp8_fp8 v[8:11], a[164:165], a[4:5], v[8:11]// 00000000BF6C: D3F30008 1C2209A4
	ds_read_b128 a[16:19], v2                                  // 00000000BF74: DBFE0000 10000002
	ds_read_b128 a[20:23], v2 offset:64                        // 00000000BF7C: DBFE0040 14000002
	v_mfma_f32_16x16x32_fp8_fp8 v[8:11], a[166:167], a[6:7], v[8:11]// 00000000BF84: D3F30008 1C220DA6
	v_mfma_f32_16x16x32_fp8_fp8 v[12:15], a[168:169], a[0:1], 0// 00000000BF8C: D3F3000C 1A0201A8
	buffer_load_dwordx4 a[100:103], v42, s[84:87], 0 offen offset:1024// 00000000BF94: E05C1400 8095642A
	v_mfma_f32_16x16x32_fp8_fp8 v[12:15], a[170:171], a[2:3], v[12:15]// 00000000BF9C: D3F3000C 1C3205AA
	v_mfma_f32_16x16x32_fp8_fp8 v[12:15], a[172:173], a[4:5], v[12:15]// 00000000BFA4: D3F3000C 1C3209AC
	ds_read_b128 a[24:27], v2 offset:512                       // 00000000BFAC: DBFE0200 18000002
	ds_read_b128 a[28:31], v2 offset:576                       // 00000000BFB4: DBFE0240 1C000002
	v_mfma_f32_16x16x32_fp8_fp8 v[12:15], a[174:175], a[6:7], v[12:15]// 00000000BFBC: D3F3000C 1C320DAE
	v_fma_f32 v116, v8, v4, v116                               // 00000000BFC4: D1CB0074 05D20908
	v_fma_f32 v117, v9, v4, v117                               // 00000000BFCC: D1CB0075 05D60909
	v_fma_f32 v118, v10, v4, v118                              // 00000000BFD4: D1CB0076 05DA090A
	v_fma_f32 v119, v11, v4, v119                              // 00000000BFDC: D1CB0077 05DE090B
	v_mul_f32_dpp v6, v29, v36 row_newbcast:1 row_mask:0xf bank_mask:0xf// 00000000BFE4: 0A0C48FA FF01511D
	v_mfma_f32_16x16x32_fp8_fp8 v[8:11], a[176:177], a[0:1], 0 // 00000000BFEC: D3F30008 1A0201B0
	buffer_load_dwordx4 a[104:107], v43, s[84:87], 0 offen     // 00000000BFF4: E05C1000 8095682B
	v_mfma_f32_16x16x32_fp8_fp8 v[8:11], a[178:179], a[2:3], v[8:11]// 00000000BFFC: D3F30008 1C2205B2
	v_mfma_f32_16x16x32_fp8_fp8 v[8:11], a[180:181], a[4:5], v[8:11]// 00000000C004: D3F30008 1C2209B4
	v_mfma_f32_16x16x32_fp8_fp8 v[8:11], a[182:183], a[6:7], v[8:11]// 00000000C00C: D3F30008 1C220DB6
	v_fma_f32 v124, v12, v4, v124                              // 00000000C014: D1CB007C 05F2090C
	v_fma_f32 v125, v13, v4, v125                              // 00000000C01C: D1CB007D 05F6090D
	v_fma_f32 v126, v14, v4, v126                              // 00000000C024: D1CB007E 05FA090E
	v_fma_f32 v127, v15, v4, v127                              // 00000000C02C: D1CB007F 05FE090F
	v_mfma_f32_16x16x32_fp8_fp8 v[12:15], a[184:185], a[0:1], 0// 00000000C034: D3F3000C 1A0201B8
	buffer_load_dwordx4 a[108:111], v43, s[84:87], 0 offen offset:1024// 00000000C03C: E05C1400 80956C2B
	v_mfma_f32_16x16x32_fp8_fp8 v[12:15], a[186:187], a[2:3], v[12:15]// 00000000C044: D3F3000C 1C3205BA
	v_mfma_f32_16x16x32_fp8_fp8 v[12:15], a[188:189], a[4:5], v[12:15]// 00000000C04C: D3F3000C 1C3209BC
	v_mfma_f32_16x16x32_fp8_fp8 v[12:15], a[190:191], a[6:7], v[12:15]// 00000000C054: D3F3000C 1C320DBE
	v_fma_f32 v132, v8, v6, v132                               // 00000000C05C: D1CB0084 06120D08
	v_fma_f32 v133, v9, v6, v133                               // 00000000C064: D1CB0085 06160D09
	v_fma_f32 v134, v10, v6, v134                              // 00000000C06C: D1CB0086 061A0D0A
	v_fma_f32 v135, v11, v6, v135                              // 00000000C074: D1CB0087 061E0D0B
	v_mul_f32_dpp v4, v29, v36 row_newbcast:2 row_mask:0xf bank_mask:0xf// 00000000C07C: 0A0848FA FF01521D
	v_mfma_f32_16x16x32_fp8_fp8 v[8:11], a[192:193], a[0:1], 0 // 00000000C084: D3F30008 1A0201C0
	buffer_load_dwordx4 a[112:115], v44, s[84:87], 0 offen     // 00000000C08C: E05C1000 8095702C
	v_mfma_f32_16x16x32_fp8_fp8 v[8:11], a[194:195], a[2:3], v[8:11]// 00000000C094: D3F30008 1C2205C2
	v_mfma_f32_16x16x32_fp8_fp8 v[8:11], a[196:197], a[4:5], v[8:11]// 00000000C09C: D3F30008 1C2209C4
	v_mfma_f32_16x16x32_fp8_fp8 v[8:11], a[198:199], a[6:7], v[8:11]// 00000000C0A4: D3F30008 1C220DC6
	v_fma_f32 v140, v12, v6, v140                              // 00000000C0AC: D1CB008C 06320D0C
	v_fma_f32 v141, v13, v6, v141                              // 00000000C0B4: D1CB008D 06360D0D
	v_fma_f32 v142, v14, v6, v142                              // 00000000C0BC: D1CB008E 063A0D0E
	v_fma_f32 v143, v15, v6, v143                              // 00000000C0C4: D1CB008F 063E0D0F
	v_mfma_f32_16x16x32_fp8_fp8 v[12:15], a[200:201], a[0:1], 0// 00000000C0CC: D3F3000C 1A0201C8
	buffer_load_dwordx4 a[116:119], v44, s[84:87], 0 offen offset:1024// 00000000C0D4: E05C1400 8095742C
	v_mfma_f32_16x16x32_fp8_fp8 v[12:15], a[202:203], a[2:3], v[12:15]// 00000000C0DC: D3F3000C 1C3205CA
	v_mfma_f32_16x16x32_fp8_fp8 v[12:15], a[204:205], a[4:5], v[12:15]// 00000000C0E4: D3F3000C 1C3209CC
	v_mfma_f32_16x16x32_fp8_fp8 v[12:15], a[206:207], a[6:7], v[12:15]// 00000000C0EC: D3F3000C 1C320DCE
	v_fma_f32 v148, v8, v4, v148                               // 00000000C0F4: D1CB0094 06520908
	v_fma_f32 v149, v9, v4, v149                               // 00000000C0FC: D1CB0095 06560909
	v_fma_f32 v150, v10, v4, v150                              // 00000000C104: D1CB0096 065A090A
	v_fma_f32 v151, v11, v4, v151                              // 00000000C10C: D1CB0097 065E090B
	v_mul_f32_dpp v6, v29, v36 row_newbcast:3 row_mask:0xf bank_mask:0xf// 00000000C114: 0A0C48FA FF01531D
	v_mfma_f32_16x16x32_fp8_fp8 v[8:11], a[208:209], a[0:1], 0 // 00000000C11C: D3F30008 1A0201D0
	buffer_load_dwordx4 a[120:123], v45, s[84:87], 0 offen     // 00000000C124: E05C1000 8095782D
	v_mfma_f32_16x16x32_fp8_fp8 v[8:11], a[210:211], a[2:3], v[8:11]// 00000000C12C: D3F30008 1C2205D2
	v_mfma_f32_16x16x32_fp8_fp8 v[8:11], a[212:213], a[4:5], v[8:11]// 00000000C134: D3F30008 1C2209D4
	v_mfma_f32_16x16x32_fp8_fp8 v[8:11], a[214:215], a[6:7], v[8:11]// 00000000C13C: D3F30008 1C220DD6
	v_fma_f32 v156, v12, v4, v156                              // 00000000C144: D1CB009C 0672090C
	v_fma_f32 v157, v13, v4, v157                              // 00000000C14C: D1CB009D 0676090D
	v_fma_f32 v158, v14, v4, v158                              // 00000000C154: D1CB009E 067A090E
	v_fma_f32 v159, v15, v4, v159                              // 00000000C15C: D1CB009F 067E090F
	v_mfma_f32_16x16x32_fp8_fp8 v[12:15], a[216:217], a[0:1], 0// 00000000C164: D3F3000C 1A0201D8
	buffer_load_dwordx4 a[124:127], v45, s[84:87], 0 offen offset:1024// 00000000C16C: E05C1400 80957C2D
	v_mfma_f32_16x16x32_fp8_fp8 v[12:15], a[218:219], a[2:3], v[12:15]// 00000000C174: D3F3000C 1C3205DA
	v_mfma_f32_16x16x32_fp8_fp8 v[12:15], a[220:221], a[4:5], v[12:15]// 00000000C17C: D3F3000C 1C3209DC
	v_mfma_f32_16x16x32_fp8_fp8 v[12:15], a[222:223], a[6:7], v[12:15]// 00000000C184: D3F3000C 1C320DDE
	v_fma_f32 v164, v8, v6, v164                               // 00000000C18C: D1CB00A4 06920D08
	v_fma_f32 v165, v9, v6, v165                               // 00000000C194: D1CB00A5 06960D09
	v_fma_f32 v166, v10, v6, v166                              // 00000000C19C: D1CB00A6 069A0D0A
	v_fma_f32 v167, v11, v6, v167                              // 00000000C1A4: D1CB00A7 069E0D0B
	v_mul_f32_dpp v4, v29, v37 row_newbcast:0 row_mask:0xf bank_mask:0xf// 00000000C1AC: 0A084AFA FF01501D
	v_mfma_f32_16x16x32_fp8_fp8 v[8:11], a[160:161], a[8:9], 0 // 00000000C1B4: D3F30008 1A0211A0
	buffer_load_dwordx4 a[128:131], v46, s[84:87], 0 offen     // 00000000C1BC: E05C1000 8095802E
	v_mfma_f32_16x16x32_fp8_fp8 v[8:11], a[162:163], a[10:11], v[8:11]// 00000000C1C4: D3F30008 1C2215A2
	v_mfma_f32_16x16x32_fp8_fp8 v[8:11], a[164:165], a[12:13], v[8:11]// 00000000C1CC: D3F30008 1C2219A4
	v_mfma_f32_16x16x32_fp8_fp8 v[8:11], a[166:167], a[14:15], v[8:11]// 00000000C1D4: D3F30008 1C221DA6
	v_fma_f32 v172, v12, v6, v172                              // 00000000C1DC: D1CB00AC 06B20D0C
	v_fma_f32 v173, v13, v6, v173                              // 00000000C1E4: D1CB00AD 06B60D0D
	v_fma_f32 v174, v14, v6, v174                              // 00000000C1EC: D1CB00AE 06BA0D0E
	v_fma_f32 v175, v15, v6, v175                              // 00000000C1F4: D1CB00AF 06BE0D0F
	v_mfma_f32_16x16x32_fp8_fp8 v[12:15], a[168:169], a[8:9], 0// 00000000C1FC: D3F3000C 1A0211A8
	buffer_load_dwordx4 a[132:135], v46, s[84:87], 0 offen offset:1024// 00000000C204: E05C1400 8095842E
	v_mfma_f32_16x16x32_fp8_fp8 v[12:15], a[170:171], a[10:11], v[12:15]// 00000000C20C: D3F3000C 1C3215AA
	v_mfma_f32_16x16x32_fp8_fp8 v[12:15], a[172:173], a[12:13], v[12:15]// 00000000C214: D3F3000C 1C3219AC
	v_mfma_f32_16x16x32_fp8_fp8 v[12:15], a[174:175], a[14:15], v[12:15]// 00000000C21C: D3F3000C 1C321DAE
	v_fma_f32 v120, v8, v4, v120                               // 00000000C224: D1CB0078 05E20908
	v_fma_f32 v121, v9, v4, v121                               // 00000000C22C: D1CB0079 05E60909
	v_fma_f32 v122, v10, v4, v122                              // 00000000C234: D1CB007A 05EA090A
	v_fma_f32 v123, v11, v4, v123                              // 00000000C23C: D1CB007B 05EE090B
	v_mul_f32_dpp v6, v29, v37 row_newbcast:1 row_mask:0xf bank_mask:0xf// 00000000C244: 0A0C4AFA FF01511D
	v_mfma_f32_16x16x32_fp8_fp8 v[8:11], a[176:177], a[8:9], 0 // 00000000C24C: D3F30008 1A0211B0
	buffer_load_dwordx4 a[136:139], v47, s[84:87], 0 offen     // 00000000C254: E05C1000 8095882F
	v_mfma_f32_16x16x32_fp8_fp8 v[8:11], a[178:179], a[10:11], v[8:11]// 00000000C25C: D3F30008 1C2215B2
	v_mfma_f32_16x16x32_fp8_fp8 v[8:11], a[180:181], a[12:13], v[8:11]// 00000000C264: D3F30008 1C2219B4
	v_mfma_f32_16x16x32_fp8_fp8 v[8:11], a[182:183], a[14:15], v[8:11]// 00000000C26C: D3F30008 1C221DB6
	v_fma_f32 v128, v12, v4, v128                              // 00000000C274: D1CB0080 0602090C
	v_fma_f32 v129, v13, v4, v129                              // 00000000C27C: D1CB0081 0606090D
	v_fma_f32 v130, v14, v4, v130                              // 00000000C284: D1CB0082 060A090E
	v_fma_f32 v131, v15, v4, v131                              // 00000000C28C: D1CB0083 060E090F
	v_mfma_f32_16x16x32_fp8_fp8 v[12:15], a[184:185], a[8:9], 0// 00000000C294: D3F3000C 1A0211B8
	buffer_load_dwordx4 a[140:143], v47, s[84:87], 0 offen offset:1024// 00000000C29C: E05C1400 80958C2F
	v_mfma_f32_16x16x32_fp8_fp8 v[12:15], a[186:187], a[10:11], v[12:15]// 00000000C2A4: D3F3000C 1C3215BA
	v_mfma_f32_16x16x32_fp8_fp8 v[12:15], a[188:189], a[12:13], v[12:15]// 00000000C2AC: D3F3000C 1C3219BC
	v_mfma_f32_16x16x32_fp8_fp8 v[12:15], a[190:191], a[14:15], v[12:15]// 00000000C2B4: D3F3000C 1C321DBE
	v_fma_f32 v136, v8, v6, v136                               // 00000000C2BC: D1CB0088 06220D08
	v_fma_f32 v137, v9, v6, v137                               // 00000000C2C4: D1CB0089 06260D09
	v_fma_f32 v138, v10, v6, v138                              // 00000000C2CC: D1CB008A 062A0D0A
	v_fma_f32 v139, v11, v6, v139                              // 00000000C2D4: D1CB008B 062E0D0B
	v_mul_f32_dpp v4, v29, v37 row_newbcast:2 row_mask:0xf bank_mask:0xf// 00000000C2DC: 0A084AFA FF01521D
	v_mfma_f32_16x16x32_fp8_fp8 v[8:11], a[192:193], a[8:9], 0 // 00000000C2E4: D3F30008 1A0211C0
	buffer_load_dwordx4 a[144:147], v48, s[84:87], 0 offen     // 00000000C2EC: E05C1000 80959030
	v_mfma_f32_16x16x32_fp8_fp8 v[8:11], a[194:195], a[10:11], v[8:11]// 00000000C2F4: D3F30008 1C2215C2
	v_mfma_f32_16x16x32_fp8_fp8 v[8:11], a[196:197], a[12:13], v[8:11]// 00000000C2FC: D3F30008 1C2219C4
	v_mfma_f32_16x16x32_fp8_fp8 v[8:11], a[198:199], a[14:15], v[8:11]// 00000000C304: D3F30008 1C221DC6
	v_fma_f32 v144, v12, v6, v144                              // 00000000C30C: D1CB0090 06420D0C
	v_fma_f32 v145, v13, v6, v145                              // 00000000C314: D1CB0091 06460D0D
	v_fma_f32 v146, v14, v6, v146                              // 00000000C31C: D1CB0092 064A0D0E
	v_fma_f32 v147, v15, v6, v147                              // 00000000C324: D1CB0093 064E0D0F
	v_mfma_f32_16x16x32_fp8_fp8 v[12:15], a[200:201], a[8:9], 0// 00000000C32C: D3F3000C 1A0211C8
	buffer_load_dwordx4 a[148:151], v48, s[84:87], 0 offen offset:1024// 00000000C334: E05C1400 80959430
	v_mfma_f32_16x16x32_fp8_fp8 v[12:15], a[202:203], a[10:11], v[12:15]// 00000000C33C: D3F3000C 1C3215CA
	v_mfma_f32_16x16x32_fp8_fp8 v[12:15], a[204:205], a[12:13], v[12:15]// 00000000C344: D3F3000C 1C3219CC
	v_mfma_f32_16x16x32_fp8_fp8 v[12:15], a[206:207], a[14:15], v[12:15]// 00000000C34C: D3F3000C 1C321DCE
	v_fma_f32 v152, v8, v4, v152                               // 00000000C354: D1CB0098 06620908
	v_fma_f32 v153, v9, v4, v153                               // 00000000C35C: D1CB0099 06660909
	v_fma_f32 v154, v10, v4, v154                              // 00000000C364: D1CB009A 066A090A
	v_fma_f32 v155, v11, v4, v155                              // 00000000C36C: D1CB009B 066E090B
	v_mul_f32_dpp v6, v29, v37 row_newbcast:3 row_mask:0xf bank_mask:0xf// 00000000C374: 0A0C4AFA FF01531D
	v_mfma_f32_16x16x32_fp8_fp8 v[8:11], a[208:209], a[8:9], 0 // 00000000C37C: D3F30008 1A0211D0
	buffer_load_dwordx4 a[152:155], v49, s[84:87], 0 offen     // 00000000C384: E05C1000 80959831
	s_add_u32 s60, 0x180, s80                                  // 00000000C38C: 803C50FF 00000180
	s_cmp_lt_u32 s60, s81                                      // 00000000C394: BF0A513C
	s_cselect_b32 s57, s57, 0                                  // 00000000C398: 85398039
	s_cselect_b32 s3, s3, 0                                    // 00000000C39C: 85038003
	v_mfma_f32_16x16x32_fp8_fp8 v[8:11], a[210:211], a[10:11], v[8:11]// 00000000C3A0: D3F30008 1C2215D2
	s_add_u32 s60, 0x100, s80                                  // 00000000C3A8: 803C50FF 00000100
	s_cmp_lt_u32 s60, s81                                      // 00000000C3B0: BF0A513C
	s_cselect_b32 s58, s58, 0                                  // 00000000C3B4: 853A803A
	v_mfma_f32_16x16x32_fp8_fp8 v[8:11], a[212:213], a[12:13], v[8:11]// 00000000C3B8: D3F30008 1C2219D4
	s_add_u32 s60, 0x100, s80                                  // 00000000C3C0: 803C50FF 00000100
	s_cmp_lt_u32 s60, s81                                      // 00000000C3C8: BF0A513C
	s_cselect_b32 s83, s83, 0                                  // 00000000C3CC: 85538053
	s_cselect_b32 s4, s4, 0                                    // 00000000C3D0: 85048004
	v_mfma_f32_16x16x32_fp8_fp8 v[8:11], a[214:215], a[14:15], v[8:11]// 00000000C3D4: D3F30008 1C221DD6
	s_add_u32 s24, s58, s24                                    // 00000000C3DC: 8018183A
	s_addc_u32 s25, 0, s25                                     // 00000000C3E0: 82191980
	v_fma_f32 v160, v12, v4, v160                              // 00000000C3E4: D1CB00A0 0682090C
	v_fma_f32 v161, v13, v4, v161                              // 00000000C3EC: D1CB00A1 0686090D
	v_fma_f32 v162, v14, v4, v162                              // 00000000C3F4: D1CB00A2 068A090E
	v_fma_f32 v163, v15, v4, v163                              // 00000000C3FC: D1CB00A3 068E090F
	v_mfma_f32_16x16x32_fp8_fp8 v[12:15], a[216:217], a[8:9], 0// 00000000C404: D3F3000C 1A0211D8
	buffer_load_dwordx4 a[156:159], v49, s[84:87], 0 offen offset:1024// 00000000C40C: E05C1400 80959C31
	s_add_u32 s20, s57, s20                                    // 00000000C414: 80141439
	s_addc_u32 s21, 0, s21                                     // 00000000C418: 82151580
	s_add_u32 s28, s3, s28                                     // 00000000C41C: 801C1C03
	s_addc_u32 s29, 0, s29                                     // 00000000C420: 821D1D80
	v_mfma_f32_16x16x32_fp8_fp8 v[12:15], a[218:219], a[10:11], v[12:15]// 00000000C424: D3F3000C 1C3215DA
	s_add_u32 s84, s83, s84                                    // 00000000C42C: 80545453
	s_addc_u32 s85, 0, s85                                     // 00000000C430: 82555580
	v_mfma_f32_16x16x32_fp8_fp8 v[12:15], a[220:221], a[12:13], v[12:15]// 00000000C434: D3F3000C 1C3219DC
	s_add_u32 s32, s4, s32                                     // 00000000C43C: 80202004
	s_addc_u32 s33, 0, s33                                     // 00000000C440: 82212180
	v_mfma_f32_16x16x32_fp8_fp8 v[12:15], a[222:223], a[14:15], v[12:15]// 00000000C444: D3F3000C 1C321DDE
	v_fma_f32 v168, v8, v6, v168                               // 00000000C44C: D1CB00A8 06A20D08
	v_fma_f32 v169, v9, v6, v169                               // 00000000C454: D1CB00A9 06A60D09
	v_fma_f32 v170, v10, v6, v170                              // 00000000C45C: D1CB00AA 06AA0D0A
	v_fma_f32 v171, v11, v6, v171                              // 00000000C464: D1CB00AB 06AE0D0B
	v_fma_f32 v176, v12, v6, v176                              // 00000000C46C: D1CB00B0 06C20D0C
	v_fma_f32 v177, v13, v6, v177                              // 00000000C474: D1CB00B1 06C60D0D
	v_fma_f32 v178, v14, v6, v178                              // 00000000C47C: D1CB00B2 06CA0D0E
	v_fma_f32 v179, v15, v6, v179                              // 00000000C484: D1CB00B3 06CE0D0F
	s_addk_i32 s80, 0x80                                       // 00000000C48C: B7500080
	s_cmp_lt_i32 s80, s81                                      // 00000000C490: BF045150
	s_cbranch_scc0 label_2E81                                  // 00000000C494: BF8407D8
	s_waitcnt vmcnt(23) lgkmcnt(0)                             // 00000000C498: BF8C4077
	v_mul_f32_dpp v4, v24, v32 row_newbcast:0 row_mask:0xf bank_mask:0xf// 00000000C49C: 0A0840FA FF015018
	v_mfma_f32_16x16x32_fp8_fp8 v[8:11], a[32:33], a[16:17], 0 // 00000000C4A4: D3F30008 1A022120
	buffer_load_dword v25, v22, s[32:35], 0 offen              // 00000000C4AC: E0501000 80081916
	buffer_load_dwordx4 a[160:163], v42, s[24:27], 0 offen     // 00000000C4B4: E05C1000 8086A02A
	v_mfma_f32_16x16x32_fp8_fp8 v[8:11], a[34:35], a[18:19], v[8:11]// 00000000C4BC: D3F30008 1C222522
	v_mfma_f32_16x16x32_fp8_fp8 v[8:11], a[36:37], a[20:21], v[8:11]// 00000000C4C4: D3F30008 1C222924
	v_mfma_f32_16x16x32_fp8_fp8 v[8:11], a[38:39], a[22:23], v[8:11]// 00000000C4CC: D3F30008 1C222D26
	v_mfma_f32_16x16x32_fp8_fp8 v[12:15], a[40:41], a[16:17], 0// 00000000C4D4: D3F3000C 1A022128
	buffer_load_dwordx4 a[164:167], v42, s[24:27], 0 offen offset:1024// 00000000C4DC: E05C1400 8086A42A
	v_mfma_f32_16x16x32_fp8_fp8 v[12:15], a[42:43], a[18:19], v[12:15]// 00000000C4E4: D3F3000C 1C32252A
	v_mfma_f32_16x16x32_fp8_fp8 v[12:15], a[44:45], a[20:21], v[12:15]// 00000000C4EC: D3F3000C 1C32292C
	v_mfma_f32_16x16x32_fp8_fp8 v[12:15], a[46:47], a[22:23], v[12:15]// 00000000C4F4: D3F3000C 1C322D2E
	v_fma_f32 v52, v8, v4, v52                                 // 00000000C4FC: D1CB0034 04D20908
	v_fma_f32 v53, v9, v4, v53                                 // 00000000C504: D1CB0035 04D60909
	v_fma_f32 v54, v10, v4, v54                                // 00000000C50C: D1CB0036 04DA090A
	v_fma_f32 v55, v11, v4, v55                                // 00000000C514: D1CB0037 04DE090B
	v_mul_f32_dpp v6, v24, v32 row_newbcast:1 row_mask:0xf bank_mask:0xf// 00000000C51C: 0A0C40FA FF015118
	v_mfma_f32_16x16x32_fp8_fp8 v[8:11], a[48:49], a[16:17], 0 // 00000000C524: D3F30008 1A022130
	buffer_load_dwordx4 a[168:171], v43, s[24:27], 0 offen     // 00000000C52C: E05C1000 8086A82B
	v_mfma_f32_16x16x32_fp8_fp8 v[8:11], a[50:51], a[18:19], v[8:11]// 00000000C534: D3F30008 1C222532
	v_mfma_f32_16x16x32_fp8_fp8 v[8:11], a[52:53], a[20:21], v[8:11]// 00000000C53C: D3F30008 1C222934
	v_mfma_f32_16x16x32_fp8_fp8 v[8:11], a[54:55], a[22:23], v[8:11]// 00000000C544: D3F30008 1C222D36
	v_fma_f32 v60, v12, v4, v60                                // 00000000C54C: D1CB003C 04F2090C
	v_fma_f32 v61, v13, v4, v61                                // 00000000C554: D1CB003D 04F6090D
	v_fma_f32 v62, v14, v4, v62                                // 00000000C55C: D1CB003E 04FA090E
	v_fma_f32 v63, v15, v4, v63                                // 00000000C564: D1CB003F 04FE090F
	v_mfma_f32_16x16x32_fp8_fp8 v[12:15], a[56:57], a[16:17], 0// 00000000C56C: D3F3000C 1A022138
	buffer_load_dwordx4 a[172:175], v43, s[24:27], 0 offen offset:1024// 00000000C574: E05C1400 8086AC2B
	v_mfma_f32_16x16x32_fp8_fp8 v[12:15], a[58:59], a[18:19], v[12:15]// 00000000C57C: D3F3000C 1C32253A
	v_mfma_f32_16x16x32_fp8_fp8 v[12:15], a[60:61], a[20:21], v[12:15]// 00000000C584: D3F3000C 1C32293C
	v_mfma_f32_16x16x32_fp8_fp8 v[12:15], a[62:63], a[22:23], v[12:15]// 00000000C58C: D3F3000C 1C322D3E
	v_fma_f32 v68, v8, v6, v68                                 // 00000000C594: D1CB0044 05120D08
	v_fma_f32 v69, v9, v6, v69                                 // 00000000C59C: D1CB0045 05160D09
	v_fma_f32 v70, v10, v6, v70                                // 00000000C5A4: D1CB0046 051A0D0A
	v_fma_f32 v71, v11, v6, v71                                // 00000000C5AC: D1CB0047 051E0D0B
	v_mul_f32_dpp v4, v24, v32 row_newbcast:2 row_mask:0xf bank_mask:0xf// 00000000C5B4: 0A0840FA FF015218
	v_mfma_f32_16x16x32_fp8_fp8 v[8:11], a[64:65], a[16:17], 0 // 00000000C5BC: D3F30008 1A022140
	buffer_load_dwordx4 a[176:179], v44, s[24:27], 0 offen     // 00000000C5C4: E05C1000 8086B02C
	v_mfma_f32_16x16x32_fp8_fp8 v[8:11], a[66:67], a[18:19], v[8:11]// 00000000C5CC: D3F30008 1C222542
	v_mfma_f32_16x16x32_fp8_fp8 v[8:11], a[68:69], a[20:21], v[8:11]// 00000000C5D4: D3F30008 1C222944
	v_mfma_f32_16x16x32_fp8_fp8 v[8:11], a[70:71], a[22:23], v[8:11]// 00000000C5DC: D3F30008 1C222D46
	v_fma_f32 v76, v12, v6, v76                                // 00000000C5E4: D1CB004C 05320D0C
	v_fma_f32 v77, v13, v6, v77                                // 00000000C5EC: D1CB004D 05360D0D
	v_fma_f32 v78, v14, v6, v78                                // 00000000C5F4: D1CB004E 053A0D0E
	v_fma_f32 v79, v15, v6, v79                                // 00000000C5FC: D1CB004F 053E0D0F
	v_mfma_f32_16x16x32_fp8_fp8 v[12:15], a[72:73], a[16:17], 0// 00000000C604: D3F3000C 1A022148
	buffer_load_dwordx4 a[180:183], v44, s[24:27], 0 offen offset:1024// 00000000C60C: E05C1400 8086B42C
	v_mfma_f32_16x16x32_fp8_fp8 v[12:15], a[74:75], a[18:19], v[12:15]// 00000000C614: D3F3000C 1C32254A
	v_mfma_f32_16x16x32_fp8_fp8 v[12:15], a[76:77], a[20:21], v[12:15]// 00000000C61C: D3F3000C 1C32294C
	v_mfma_f32_16x16x32_fp8_fp8 v[12:15], a[78:79], a[22:23], v[12:15]// 00000000C624: D3F3000C 1C322D4E
	v_fma_f32 v84, v8, v4, v84                                 // 00000000C62C: D1CB0054 05520908
	v_fma_f32 v85, v9, v4, v85                                 // 00000000C634: D1CB0055 05560909
	v_fma_f32 v86, v10, v4, v86                                // 00000000C63C: D1CB0056 055A090A
	v_fma_f32 v87, v11, v4, v87                                // 00000000C644: D1CB0057 055E090B
	v_mul_f32_dpp v6, v24, v32 row_newbcast:3 row_mask:0xf bank_mask:0xf// 00000000C64C: 0A0C40FA FF015318
	v_mfma_f32_16x16x32_fp8_fp8 v[8:11], a[80:81], a[16:17], 0 // 00000000C654: D3F30008 1A022150
	buffer_load_dwordx4 a[184:187], v45, s[24:27], 0 offen     // 00000000C65C: E05C1000 8086B82D
	v_mfma_f32_16x16x32_fp8_fp8 v[8:11], a[82:83], a[18:19], v[8:11]// 00000000C664: D3F30008 1C222552
	v_mfma_f32_16x16x32_fp8_fp8 v[8:11], a[84:85], a[20:21], v[8:11]// 00000000C66C: D3F30008 1C222954
	v_mfma_f32_16x16x32_fp8_fp8 v[8:11], a[86:87], a[22:23], v[8:11]// 00000000C674: D3F30008 1C222D56
	v_fma_f32 v92, v12, v4, v92                                // 00000000C67C: D1CB005C 0572090C
	v_fma_f32 v93, v13, v4, v93                                // 00000000C684: D1CB005D 0576090D
	v_fma_f32 v94, v14, v4, v94                                // 00000000C68C: D1CB005E 057A090E
	v_fma_f32 v95, v15, v4, v95                                // 00000000C694: D1CB005F 057E090F
	v_mfma_f32_16x16x32_fp8_fp8 v[12:15], a[88:89], a[16:17], 0// 00000000C69C: D3F3000C 1A022158
	buffer_load_dwordx4 a[188:191], v45, s[24:27], 0 offen offset:1024// 00000000C6A4: E05C1400 8086BC2D
	v_mfma_f32_16x16x32_fp8_fp8 v[12:15], a[90:91], a[18:19], v[12:15]// 00000000C6AC: D3F3000C 1C32255A
	v_mfma_f32_16x16x32_fp8_fp8 v[12:15], a[92:93], a[20:21], v[12:15]// 00000000C6B4: D3F3000C 1C32295C
	v_mfma_f32_16x16x32_fp8_fp8 v[12:15], a[94:95], a[22:23], v[12:15]// 00000000C6BC: D3F3000C 1C322D5E
	v_fma_f32 v100, v8, v6, v100                               // 00000000C6C4: D1CB0064 05920D08
	v_fma_f32 v101, v9, v6, v101                               // 00000000C6CC: D1CB0065 05960D09
	v_fma_f32 v102, v10, v6, v102                              // 00000000C6D4: D1CB0066 059A0D0A
	v_fma_f32 v103, v11, v6, v103                              // 00000000C6DC: D1CB0067 059E0D0B
	v_mul_f32_dpp v4, v24, v33 row_newbcast:0 row_mask:0xf bank_mask:0xf// 00000000C6E4: 0A0842FA FF015018
	v_mfma_f32_16x16x32_fp8_fp8 v[8:11], a[32:33], a[24:25], 0 // 00000000C6EC: D3F30008 1A023120
	buffer_load_dwordx4 a[192:195], v46, s[24:27], 0 offen     // 00000000C6F4: E05C1000 8086C02E
	v_mfma_f32_16x16x32_fp8_fp8 v[8:11], a[34:35], a[26:27], v[8:11]// 00000000C6FC: D3F30008 1C223522
	v_mfma_f32_16x16x32_fp8_fp8 v[8:11], a[36:37], a[28:29], v[8:11]// 00000000C704: D3F30008 1C223924
	v_mfma_f32_16x16x32_fp8_fp8 v[8:11], a[38:39], a[30:31], v[8:11]// 00000000C70C: D3F30008 1C223D26
	v_fma_f32 v108, v12, v6, v108                              // 00000000C714: D1CB006C 05B20D0C
	v_fma_f32 v109, v13, v6, v109                              // 00000000C71C: D1CB006D 05B60D0D
	v_fma_f32 v110, v14, v6, v110                              // 00000000C724: D1CB006E 05BA0D0E
	v_fma_f32 v111, v15, v6, v111                              // 00000000C72C: D1CB006F 05BE0D0F
	v_mfma_f32_16x16x32_fp8_fp8 v[12:15], a[40:41], a[24:25], 0// 00000000C734: D3F3000C 1A023128
	buffer_load_dwordx4 a[196:199], v46, s[24:27], 0 offen offset:1024// 00000000C73C: E05C1400 8086C42E
	v_mfma_f32_16x16x32_fp8_fp8 v[12:15], a[42:43], a[26:27], v[12:15]// 00000000C744: D3F3000C 1C32352A
	v_mfma_f32_16x16x32_fp8_fp8 v[12:15], a[44:45], a[28:29], v[12:15]// 00000000C74C: D3F3000C 1C32392C
	v_mfma_f32_16x16x32_fp8_fp8 v[12:15], a[46:47], a[30:31], v[12:15]// 00000000C754: D3F3000C 1C323D2E
	v_fma_f32 v56, v8, v4, v56                                 // 00000000C75C: D1CB0038 04E20908
	v_fma_f32 v57, v9, v4, v57                                 // 00000000C764: D1CB0039 04E60909
	v_fma_f32 v58, v10, v4, v58                                // 00000000C76C: D1CB003A 04EA090A
	v_fma_f32 v59, v11, v4, v59                                // 00000000C774: D1CB003B 04EE090B
	v_mul_f32_dpp v6, v24, v33 row_newbcast:1 row_mask:0xf bank_mask:0xf// 00000000C77C: 0A0C42FA FF015118
	v_mfma_f32_16x16x32_fp8_fp8 v[8:11], a[48:49], a[24:25], 0 // 00000000C784: D3F30008 1A023130
	buffer_load_dwordx4 a[200:203], v47, s[24:27], 0 offen     // 00000000C78C: E05C1000 8086C82F
	v_mfma_f32_16x16x32_fp8_fp8 v[8:11], a[50:51], a[26:27], v[8:11]// 00000000C794: D3F30008 1C223532
	v_mfma_f32_16x16x32_fp8_fp8 v[8:11], a[52:53], a[28:29], v[8:11]// 00000000C79C: D3F30008 1C223934
	v_mfma_f32_16x16x32_fp8_fp8 v[8:11], a[54:55], a[30:31], v[8:11]// 00000000C7A4: D3F30008 1C223D36
	v_fma_f32 v64, v12, v4, v64                                // 00000000C7AC: D1CB0040 0502090C
	v_fma_f32 v65, v13, v4, v65                                // 00000000C7B4: D1CB0041 0506090D
	v_fma_f32 v66, v14, v4, v66                                // 00000000C7BC: D1CB0042 050A090E
	v_fma_f32 v67, v15, v4, v67                                // 00000000C7C4: D1CB0043 050E090F
	v_mfma_f32_16x16x32_fp8_fp8 v[12:15], a[56:57], a[24:25], 0// 00000000C7CC: D3F3000C 1A023138
	buffer_load_dwordx4 a[204:207], v47, s[24:27], 0 offen offset:1024// 00000000C7D4: E05C1400 8086CC2F
	v_mfma_f32_16x16x32_fp8_fp8 v[12:15], a[58:59], a[26:27], v[12:15]// 00000000C7DC: D3F3000C 1C32353A
	v_mfma_f32_16x16x32_fp8_fp8 v[12:15], a[60:61], a[28:29], v[12:15]// 00000000C7E4: D3F3000C 1C32393C
	v_mfma_f32_16x16x32_fp8_fp8 v[12:15], a[62:63], a[30:31], v[12:15]// 00000000C7EC: D3F3000C 1C323D3E
	v_fma_f32 v72, v8, v6, v72                                 // 00000000C7F4: D1CB0048 05220D08
	v_fma_f32 v73, v9, v6, v73                                 // 00000000C7FC: D1CB0049 05260D09
	v_fma_f32 v74, v10, v6, v74                                // 00000000C804: D1CB004A 052A0D0A
	v_fma_f32 v75, v11, v6, v75                                // 00000000C80C: D1CB004B 052E0D0B
	v_mul_f32_dpp v4, v24, v33 row_newbcast:2 row_mask:0xf bank_mask:0xf// 00000000C814: 0A0842FA FF015218
	v_mfma_f32_16x16x32_fp8_fp8 v[8:11], a[64:65], a[24:25], 0 // 00000000C81C: D3F30008 1A023140
	buffer_load_dwordx4 a[208:211], v48, s[24:27], 0 offen     // 00000000C824: E05C1000 8086D030
	v_mfma_f32_16x16x32_fp8_fp8 v[8:11], a[66:67], a[26:27], v[8:11]// 00000000C82C: D3F30008 1C223542
	v_mfma_f32_16x16x32_fp8_fp8 v[8:11], a[68:69], a[28:29], v[8:11]// 00000000C834: D3F30008 1C223944
	v_mfma_f32_16x16x32_fp8_fp8 v[8:11], a[70:71], a[30:31], v[8:11]// 00000000C83C: D3F30008 1C223D46
	v_fma_f32 v80, v12, v6, v80                                // 00000000C844: D1CB0050 05420D0C
	v_fma_f32 v81, v13, v6, v81                                // 00000000C84C: D1CB0051 05460D0D
	v_fma_f32 v82, v14, v6, v82                                // 00000000C854: D1CB0052 054A0D0E
	v_fma_f32 v83, v15, v6, v83                                // 00000000C85C: D1CB0053 054E0D0F
	v_mfma_f32_16x16x32_fp8_fp8 v[12:15], a[72:73], a[24:25], 0// 00000000C864: D3F3000C 1A023148
	buffer_load_dwordx4 a[212:215], v48, s[24:27], 0 offen offset:1024// 00000000C86C: E05C1400 8086D430
	v_mfma_f32_16x16x32_fp8_fp8 v[12:15], a[74:75], a[26:27], v[12:15]// 00000000C874: D3F3000C 1C32354A
	v_mfma_f32_16x16x32_fp8_fp8 v[12:15], a[76:77], a[28:29], v[12:15]// 00000000C87C: D3F3000C 1C32394C
	v_mfma_f32_16x16x32_fp8_fp8 v[12:15], a[78:79], a[30:31], v[12:15]// 00000000C884: D3F3000C 1C323D4E
	v_fma_f32 v88, v8, v4, v88                                 // 00000000C88C: D1CB0058 05620908
	v_fma_f32 v89, v9, v4, v89                                 // 00000000C894: D1CB0059 05660909
	v_fma_f32 v90, v10, v4, v90                                // 00000000C89C: D1CB005A 056A090A
	v_fma_f32 v91, v11, v4, v91                                // 00000000C8A4: D1CB005B 056E090B
	v_mul_f32_dpp v6, v24, v33 row_newbcast:3 row_mask:0xf bank_mask:0xf// 00000000C8AC: 0A0C42FA FF015318
	v_mfma_f32_16x16x32_fp8_fp8 v[8:11], a[80:81], a[24:25], 0 // 00000000C8B4: D3F30008 1A023150
	buffer_load_dwordx4 a[216:219], v49, s[24:27], 0 offen     // 00000000C8BC: E05C1000 8086D831
	v_mfma_f32_16x16x32_fp8_fp8 v[8:11], a[82:83], a[26:27], v[8:11]// 00000000C8C4: D3F30008 1C223552
	v_mfma_f32_16x16x32_fp8_fp8 v[8:11], a[84:85], a[28:29], v[8:11]// 00000000C8CC: D3F30008 1C223954
	v_mfma_f32_16x16x32_fp8_fp8 v[8:11], a[86:87], a[30:31], v[8:11]// 00000000C8D4: D3F30008 1C223D56
	v_fma_f32 v96, v12, v4, v96                                // 00000000C8DC: D1CB0060 0582090C
	v_fma_f32 v97, v13, v4, v97                                // 00000000C8E4: D1CB0061 0586090D
	v_fma_f32 v98, v14, v4, v98                                // 00000000C8EC: D1CB0062 058A090E
	v_fma_f32 v99, v15, v4, v99                                // 00000000C8F4: D1CB0063 058E090F
	v_mfma_f32_16x16x32_fp8_fp8 v[12:15], a[88:89], a[24:25], 0// 00000000C8FC: D3F3000C 1A023158
	buffer_load_dwordx4 a[220:223], v49, s[24:27], 0 offen offset:1024// 00000000C904: E05C1400 8086DC31
	buffer_load_dword v38, s[20:23], 0 offen lds               // 00000000C90C: E0511000 80050026
	s_add_u32 m0, 0x100, s50                                   // 00000000C914: 807C32FF 00000100
	v_mfma_f32_16x16x32_fp8_fp8 v[12:15], a[90:91], a[26:27], v[12:15]// 00000000C91C: D3F3000C 1C32355A
	v_mfma_f32_16x16x32_fp8_fp8 v[12:15], a[92:93], a[28:29], v[12:15]// 00000000C924: D3F3000C 1C32395C
	buffer_load_dword v39, s[20:23], 0 offen lds               // 00000000C92C: E0511000 80050027
	s_add_u32 m0, 0x200, s50                                   // 00000000C934: 807C32FF 00000200
	v_mfma_f32_16x16x32_fp8_fp8 v[12:15], a[94:95], a[30:31], v[12:15]// 00000000C93C: D3F3000C 1C323D5E
	v_fma_f32 v104, v8, v6, v104                               // 00000000C944: D1CB0068 05A20D08
	v_fma_f32 v105, v9, v6, v105                               // 00000000C94C: D1CB0069 05A60D09
	v_fma_f32 v106, v10, v6, v106                              // 00000000C954: D1CB006A 05AA0D0A
	v_fma_f32 v107, v11, v6, v107                              // 00000000C95C: D1CB006B 05AE0D0B
	v_fma_f32 v112, v12, v6, v112                              // 00000000C964: D1CB0070 05C20D0C
	v_fma_f32 v113, v13, v6, v113                              // 00000000C96C: D1CB0071 05C60D0D
	v_fma_f32 v114, v14, v6, v114                              // 00000000C974: D1CB0072 05CA0D0E
	v_fma_f32 v115, v15, v6, v115                              // 00000000C97C: D1CB0073 05CE0D0F
	buffer_load_dword v40, s[20:23], 0 offen lds               // 00000000C984: E0511000 80050028
	s_add_u32 m0, 0x300, s50                                   // 00000000C98C: 807C32FF 00000300
	buffer_load_dword v41, s[20:23], 0 offen lds               // 00000000C994: E0511000 80050029
	s_add_u32 m0, 0, s48                                       // 00000000C99C: 807C3080
	buffer_load_dword v36, v30, s[28:31], 0 offen              // 00000000C9A0: E0501000 8007241E
	buffer_load_dword v37, v31, s[28:31], 0 offen              // 00000000C9A8: E0501000 8007251F
	s_waitcnt vmcnt(23)                                        // 00000000C9B0: BF8C4F77
	s_barrier                                                  // 00000000C9B4: BF8A0000
	v_mul_f32_dpp v4, v27, v32 row_newbcast:0 row_mask:0xf bank_mask:0xf// 00000000C9B8: 0A0840FA FF01501B
	v_mfma_f32_16x16x32_fp8_fp8 v[8:11], a[96:97], a[16:17], 0 // 00000000C9C0: D3F30008 1A022160
	buffer_load_dword v28, v23, s[32:35], 0 offen              // 00000000C9C8: E0501000 80081C17
	buffer_load_dwordx4 a[32:35], v42, s[84:87], 0 offen       // 00000000C9D0: E05C1000 8095202A
	v_mfma_f32_16x16x32_fp8_fp8 v[8:11], a[98:99], a[18:19], v[8:11]// 00000000C9D8: D3F30008 1C222562
	v_mfma_f32_16x16x32_fp8_fp8 v[8:11], a[100:101], a[20:21], v[8:11]// 00000000C9E0: D3F30008 1C222964
	ds_read_b128 a[0:3], v2 offset:4224                        // 00000000C9E8: DBFE1080 00000002
	ds_read_b128 a[4:7], v2 offset:4288                        // 00000000C9F0: DBFE10C0 04000002
	v_mfma_f32_16x16x32_fp8_fp8 v[8:11], a[102:103], a[22:23], v[8:11]// 00000000C9F8: D3F30008 1C222D66
	v_mfma_f32_16x16x32_fp8_fp8 v[12:15], a[104:105], a[16:17], 0// 00000000CA00: D3F3000C 1A022168
	buffer_load_dwordx4 a[36:39], v42, s[84:87], 0 offen offset:1024// 00000000CA08: E05C1400 8095242A
	v_mfma_f32_16x16x32_fp8_fp8 v[12:15], a[106:107], a[18:19], v[12:15]// 00000000CA10: D3F3000C 1C32256A
	v_mfma_f32_16x16x32_fp8_fp8 v[12:15], a[108:109], a[20:21], v[12:15]// 00000000CA18: D3F3000C 1C32296C
	ds_read_b128 a[8:11], v2 offset:4736                       // 00000000CA20: DBFE1280 08000002
	ds_read_b128 a[12:15], v2 offset:4800                      // 00000000CA28: DBFE12C0 0C000002
	v_mfma_f32_16x16x32_fp8_fp8 v[12:15], a[110:111], a[22:23], v[12:15]// 00000000CA30: D3F3000C 1C322D6E
	v_fma_f32 v116, v8, v4, v116                               // 00000000CA38: D1CB0074 05D20908
	v_fma_f32 v117, v9, v4, v117                               // 00000000CA40: D1CB0075 05D60909
	v_fma_f32 v118, v10, v4, v118                              // 00000000CA48: D1CB0076 05DA090A
	v_fma_f32 v119, v11, v4, v119                              // 00000000CA50: D1CB0077 05DE090B
	v_mul_f32_dpp v6, v27, v32 row_newbcast:1 row_mask:0xf bank_mask:0xf// 00000000CA58: 0A0C40FA FF01511B
	v_mfma_f32_16x16x32_fp8_fp8 v[8:11], a[112:113], a[16:17], 0// 00000000CA60: D3F30008 1A022170
	buffer_load_dwordx4 a[40:43], v43, s[84:87], 0 offen       // 00000000CA68: E05C1000 8095282B
	v_mfma_f32_16x16x32_fp8_fp8 v[8:11], a[114:115], a[18:19], v[8:11]// 00000000CA70: D3F30008 1C222572
	v_mfma_f32_16x16x32_fp8_fp8 v[8:11], a[116:117], a[20:21], v[8:11]// 00000000CA78: D3F30008 1C222974
	v_mfma_f32_16x16x32_fp8_fp8 v[8:11], a[118:119], a[22:23], v[8:11]// 00000000CA80: D3F30008 1C222D76
	v_fma_f32 v124, v12, v4, v124                              // 00000000CA88: D1CB007C 05F2090C
	v_fma_f32 v125, v13, v4, v125                              // 00000000CA90: D1CB007D 05F6090D
	v_fma_f32 v126, v14, v4, v126                              // 00000000CA98: D1CB007E 05FA090E
	v_fma_f32 v127, v15, v4, v127                              // 00000000CAA0: D1CB007F 05FE090F
	v_mfma_f32_16x16x32_fp8_fp8 v[12:15], a[120:121], a[16:17], 0// 00000000CAA8: D3F3000C 1A022178
	buffer_load_dwordx4 a[44:47], v43, s[84:87], 0 offen offset:1024// 00000000CAB0: E05C1400 80952C2B
	v_mfma_f32_16x16x32_fp8_fp8 v[12:15], a[122:123], a[18:19], v[12:15]// 00000000CAB8: D3F3000C 1C32257A
	v_mfma_f32_16x16x32_fp8_fp8 v[12:15], a[124:125], a[20:21], v[12:15]// 00000000CAC0: D3F3000C 1C32297C
	v_mfma_f32_16x16x32_fp8_fp8 v[12:15], a[126:127], a[22:23], v[12:15]// 00000000CAC8: D3F3000C 1C322D7E
	v_fma_f32 v132, v8, v6, v132                               // 00000000CAD0: D1CB0084 06120D08
	v_fma_f32 v133, v9, v6, v133                               // 00000000CAD8: D1CB0085 06160D09
	v_fma_f32 v134, v10, v6, v134                              // 00000000CAE0: D1CB0086 061A0D0A
	v_fma_f32 v135, v11, v6, v135                              // 00000000CAE8: D1CB0087 061E0D0B
	v_mul_f32_dpp v4, v27, v32 row_newbcast:2 row_mask:0xf bank_mask:0xf// 00000000CAF0: 0A0840FA FF01521B
	v_mfma_f32_16x16x32_fp8_fp8 v[8:11], a[128:129], a[16:17], 0// 00000000CAF8: D3F30008 1A022180
	buffer_load_dwordx4 a[48:51], v44, s[84:87], 0 offen       // 00000000CB00: E05C1000 8095302C
	v_mfma_f32_16x16x32_fp8_fp8 v[8:11], a[130:131], a[18:19], v[8:11]// 00000000CB08: D3F30008 1C222582
	v_mfma_f32_16x16x32_fp8_fp8 v[8:11], a[132:133], a[20:21], v[8:11]// 00000000CB10: D3F30008 1C222984
	v_mfma_f32_16x16x32_fp8_fp8 v[8:11], a[134:135], a[22:23], v[8:11]// 00000000CB18: D3F30008 1C222D86
	v_fma_f32 v140, v12, v6, v140                              // 00000000CB20: D1CB008C 06320D0C
	v_fma_f32 v141, v13, v6, v141                              // 00000000CB28: D1CB008D 06360D0D
	v_fma_f32 v142, v14, v6, v142                              // 00000000CB30: D1CB008E 063A0D0E
	v_fma_f32 v143, v15, v6, v143                              // 00000000CB38: D1CB008F 063E0D0F
	v_mfma_f32_16x16x32_fp8_fp8 v[12:15], a[136:137], a[16:17], 0// 00000000CB40: D3F3000C 1A022188
	buffer_load_dwordx4 a[52:55], v44, s[84:87], 0 offen offset:1024// 00000000CB48: E05C1400 8095342C
	v_mfma_f32_16x16x32_fp8_fp8 v[12:15], a[138:139], a[18:19], v[12:15]// 00000000CB50: D3F3000C 1C32258A
	v_mfma_f32_16x16x32_fp8_fp8 v[12:15], a[140:141], a[20:21], v[12:15]// 00000000CB58: D3F3000C 1C32298C
	v_mfma_f32_16x16x32_fp8_fp8 v[12:15], a[142:143], a[22:23], v[12:15]// 00000000CB60: D3F3000C 1C322D8E
	v_fma_f32 v148, v8, v4, v148                               // 00000000CB68: D1CB0094 06520908
	v_fma_f32 v149, v9, v4, v149                               // 00000000CB70: D1CB0095 06560909
	v_fma_f32 v150, v10, v4, v150                              // 00000000CB78: D1CB0096 065A090A
	v_fma_f32 v151, v11, v4, v151                              // 00000000CB80: D1CB0097 065E090B
	v_mul_f32_dpp v6, v27, v32 row_newbcast:3 row_mask:0xf bank_mask:0xf// 00000000CB88: 0A0C40FA FF01531B
	v_mfma_f32_16x16x32_fp8_fp8 v[8:11], a[144:145], a[16:17], 0// 00000000CB90: D3F30008 1A022190
	buffer_load_dwordx4 a[56:59], v45, s[84:87], 0 offen       // 00000000CB98: E05C1000 8095382D
	v_mfma_f32_16x16x32_fp8_fp8 v[8:11], a[146:147], a[18:19], v[8:11]// 00000000CBA0: D3F30008 1C222592
	v_mfma_f32_16x16x32_fp8_fp8 v[8:11], a[148:149], a[20:21], v[8:11]// 00000000CBA8: D3F30008 1C222994
	v_mfma_f32_16x16x32_fp8_fp8 v[8:11], a[150:151], a[22:23], v[8:11]// 00000000CBB0: D3F30008 1C222D96
	v_fma_f32 v156, v12, v4, v156                              // 00000000CBB8: D1CB009C 0672090C
	v_fma_f32 v157, v13, v4, v157                              // 00000000CBC0: D1CB009D 0676090D
	v_fma_f32 v158, v14, v4, v158                              // 00000000CBC8: D1CB009E 067A090E
	v_fma_f32 v159, v15, v4, v159                              // 00000000CBD0: D1CB009F 067E090F
	v_mfma_f32_16x16x32_fp8_fp8 v[12:15], a[152:153], a[16:17], 0// 00000000CBD8: D3F3000C 1A022198
	buffer_load_dwordx4 a[60:63], v45, s[84:87], 0 offen offset:1024// 00000000CBE0: E05C1400 80953C2D
	v_mfma_f32_16x16x32_fp8_fp8 v[12:15], a[154:155], a[18:19], v[12:15]// 00000000CBE8: D3F3000C 1C32259A
	v_mfma_f32_16x16x32_fp8_fp8 v[12:15], a[156:157], a[20:21], v[12:15]// 00000000CBF0: D3F3000C 1C32299C
	v_mfma_f32_16x16x32_fp8_fp8 v[12:15], a[158:159], a[22:23], v[12:15]// 00000000CBF8: D3F3000C 1C322D9E
	v_fma_f32 v164, v8, v6, v164                               // 00000000CC00: D1CB00A4 06920D08
	v_fma_f32 v165, v9, v6, v165                               // 00000000CC08: D1CB00A5 06960D09
	v_fma_f32 v166, v10, v6, v166                              // 00000000CC10: D1CB00A6 069A0D0A
	v_fma_f32 v167, v11, v6, v167                              // 00000000CC18: D1CB00A7 069E0D0B
	v_mul_f32_dpp v4, v27, v33 row_newbcast:0 row_mask:0xf bank_mask:0xf// 00000000CC20: 0A0842FA FF01501B
	v_mfma_f32_16x16x32_fp8_fp8 v[8:11], a[96:97], a[24:25], 0 // 00000000CC28: D3F30008 1A023160
	buffer_load_dwordx4 a[64:67], v46, s[84:87], 0 offen       // 00000000CC30: E05C1000 8095402E
	v_mfma_f32_16x16x32_fp8_fp8 v[8:11], a[98:99], a[26:27], v[8:11]// 00000000CC38: D3F30008 1C223562
	v_mfma_f32_16x16x32_fp8_fp8 v[8:11], a[100:101], a[28:29], v[8:11]// 00000000CC40: D3F30008 1C223964
	v_mfma_f32_16x16x32_fp8_fp8 v[8:11], a[102:103], a[30:31], v[8:11]// 00000000CC48: D3F30008 1C223D66
	v_fma_f32 v172, v12, v6, v172                              // 00000000CC50: D1CB00AC 06B20D0C
	v_fma_f32 v173, v13, v6, v173                              // 00000000CC58: D1CB00AD 06B60D0D
	v_fma_f32 v174, v14, v6, v174                              // 00000000CC60: D1CB00AE 06BA0D0E
	v_fma_f32 v175, v15, v6, v175                              // 00000000CC68: D1CB00AF 06BE0D0F
	v_mfma_f32_16x16x32_fp8_fp8 v[12:15], a[104:105], a[24:25], 0// 00000000CC70: D3F3000C 1A023168
	buffer_load_dwordx4 a[68:71], v46, s[84:87], 0 offen offset:1024// 00000000CC78: E05C1400 8095442E
	v_mfma_f32_16x16x32_fp8_fp8 v[12:15], a[106:107], a[26:27], v[12:15]// 00000000CC80: D3F3000C 1C32356A
	v_mfma_f32_16x16x32_fp8_fp8 v[12:15], a[108:109], a[28:29], v[12:15]// 00000000CC88: D3F3000C 1C32396C
	v_mfma_f32_16x16x32_fp8_fp8 v[12:15], a[110:111], a[30:31], v[12:15]// 00000000CC90: D3F3000C 1C323D6E
	v_fma_f32 v120, v8, v4, v120                               // 00000000CC98: D1CB0078 05E20908
	v_fma_f32 v121, v9, v4, v121                               // 00000000CCA0: D1CB0079 05E60909
	v_fma_f32 v122, v10, v4, v122                              // 00000000CCA8: D1CB007A 05EA090A
	v_fma_f32 v123, v11, v4, v123                              // 00000000CCB0: D1CB007B 05EE090B
	v_mul_f32_dpp v6, v27, v33 row_newbcast:1 row_mask:0xf bank_mask:0xf// 00000000CCB8: 0A0C42FA FF01511B
	v_mfma_f32_16x16x32_fp8_fp8 v[8:11], a[112:113], a[24:25], 0// 00000000CCC0: D3F30008 1A023170
	buffer_load_dwordx4 a[72:75], v47, s[84:87], 0 offen       // 00000000CCC8: E05C1000 8095482F
	v_mfma_f32_16x16x32_fp8_fp8 v[8:11], a[114:115], a[26:27], v[8:11]// 00000000CCD0: D3F30008 1C223572
	v_mfma_f32_16x16x32_fp8_fp8 v[8:11], a[116:117], a[28:29], v[8:11]// 00000000CCD8: D3F30008 1C223974
	v_mfma_f32_16x16x32_fp8_fp8 v[8:11], a[118:119], a[30:31], v[8:11]// 00000000CCE0: D3F30008 1C223D76
	v_fma_f32 v128, v12, v4, v128                              // 00000000CCE8: D1CB0080 0602090C
	v_fma_f32 v129, v13, v4, v129                              // 00000000CCF0: D1CB0081 0606090D
	v_fma_f32 v130, v14, v4, v130                              // 00000000CCF8: D1CB0082 060A090E
	v_fma_f32 v131, v15, v4, v131                              // 00000000CD00: D1CB0083 060E090F
	v_mfma_f32_16x16x32_fp8_fp8 v[12:15], a[120:121], a[24:25], 0// 00000000CD08: D3F3000C 1A023178
	buffer_load_dwordx4 a[76:79], v47, s[84:87], 0 offen offset:1024// 00000000CD10: E05C1400 80954C2F
	v_mfma_f32_16x16x32_fp8_fp8 v[12:15], a[122:123], a[26:27], v[12:15]// 00000000CD18: D3F3000C 1C32357A
	v_mfma_f32_16x16x32_fp8_fp8 v[12:15], a[124:125], a[28:29], v[12:15]// 00000000CD20: D3F3000C 1C32397C
	v_mfma_f32_16x16x32_fp8_fp8 v[12:15], a[126:127], a[30:31], v[12:15]// 00000000CD28: D3F3000C 1C323D7E
	v_fma_f32 v136, v8, v6, v136                               // 00000000CD30: D1CB0088 06220D08
	v_fma_f32 v137, v9, v6, v137                               // 00000000CD38: D1CB0089 06260D09
	v_fma_f32 v138, v10, v6, v138                              // 00000000CD40: D1CB008A 062A0D0A
	v_fma_f32 v139, v11, v6, v139                              // 00000000CD48: D1CB008B 062E0D0B
	v_mul_f32_dpp v4, v27, v33 row_newbcast:2 row_mask:0xf bank_mask:0xf// 00000000CD50: 0A0842FA FF01521B
	v_mfma_f32_16x16x32_fp8_fp8 v[8:11], a[128:129], a[24:25], 0// 00000000CD58: D3F30008 1A023180
	buffer_load_dwordx4 a[80:83], v48, s[84:87], 0 offen       // 00000000CD60: E05C1000 80955030
	v_mfma_f32_16x16x32_fp8_fp8 v[8:11], a[130:131], a[26:27], v[8:11]// 00000000CD68: D3F30008 1C223582
	v_mfma_f32_16x16x32_fp8_fp8 v[8:11], a[132:133], a[28:29], v[8:11]// 00000000CD70: D3F30008 1C223984
	v_mfma_f32_16x16x32_fp8_fp8 v[8:11], a[134:135], a[30:31], v[8:11]// 00000000CD78: D3F30008 1C223D86
	v_fma_f32 v144, v12, v6, v144                              // 00000000CD80: D1CB0090 06420D0C
	v_fma_f32 v145, v13, v6, v145                              // 00000000CD88: D1CB0091 06460D0D
	v_fma_f32 v146, v14, v6, v146                              // 00000000CD90: D1CB0092 064A0D0E
	v_fma_f32 v147, v15, v6, v147                              // 00000000CD98: D1CB0093 064E0D0F
	v_mfma_f32_16x16x32_fp8_fp8 v[12:15], a[136:137], a[24:25], 0// 00000000CDA0: D3F3000C 1A023188
	buffer_load_dwordx4 a[84:87], v48, s[84:87], 0 offen offset:1024// 00000000CDA8: E05C1400 80955430
	v_mfma_f32_16x16x32_fp8_fp8 v[12:15], a[138:139], a[26:27], v[12:15]// 00000000CDB0: D3F3000C 1C32358A
	v_mfma_f32_16x16x32_fp8_fp8 v[12:15], a[140:141], a[28:29], v[12:15]// 00000000CDB8: D3F3000C 1C32398C
	v_mfma_f32_16x16x32_fp8_fp8 v[12:15], a[142:143], a[30:31], v[12:15]// 00000000CDC0: D3F3000C 1C323D8E
	v_fma_f32 v152, v8, v4, v152                               // 00000000CDC8: D1CB0098 06620908
	v_fma_f32 v153, v9, v4, v153                               // 00000000CDD0: D1CB0099 06660909
	v_fma_f32 v154, v10, v4, v154                              // 00000000CDD8: D1CB009A 066A090A
	v_fma_f32 v155, v11, v4, v155                              // 00000000CDE0: D1CB009B 066E090B
	v_mul_f32_dpp v6, v27, v33 row_newbcast:3 row_mask:0xf bank_mask:0xf// 00000000CDE8: 0A0C42FA FF01531B
	v_mfma_f32_16x16x32_fp8_fp8 v[8:11], a[144:145], a[24:25], 0// 00000000CDF0: D3F30008 1A023190
	buffer_load_dwordx4 a[88:91], v49, s[84:87], 0 offen       // 00000000CDF8: E05C1000 80955831
	s_add_u32 s60, 0x180, s80                                  // 00000000CE00: 803C50FF 00000180
	s_cmp_lt_u32 s60, s81                                      // 00000000CE08: BF0A513C
	s_cselect_b32 s57, s57, 0                                  // 00000000CE0C: 85398039
	s_cselect_b32 s3, s3, 0                                    // 00000000CE10: 85038003
	v_mfma_f32_16x16x32_fp8_fp8 v[8:11], a[146:147], a[26:27], v[8:11]// 00000000CE14: D3F30008 1C223592
	s_add_u32 s60, 0x100, s80                                  // 00000000CE1C: 803C50FF 00000100
	s_cmp_lt_u32 s60, s81                                      // 00000000CE24: BF0A513C
	s_cselect_b32 s58, s58, 0                                  // 00000000CE28: 853A803A
	v_mfma_f32_16x16x32_fp8_fp8 v[8:11], a[148:149], a[28:29], v[8:11]// 00000000CE2C: D3F30008 1C223994
	s_add_u32 s60, 0x100, s80                                  // 00000000CE34: 803C50FF 00000100
	s_cmp_lt_u32 s60, s81                                      // 00000000CE3C: BF0A513C
	s_cselect_b32 s83, s83, 0                                  // 00000000CE40: 85538053
	s_cselect_b32 s4, s4, 0                                    // 00000000CE44: 85048004
	v_mfma_f32_16x16x32_fp8_fp8 v[8:11], a[150:151], a[30:31], v[8:11]// 00000000CE48: D3F30008 1C223D96
	s_add_u32 s24, s58, s24                                    // 00000000CE50: 8018183A
	s_addc_u32 s25, 0, s25                                     // 00000000CE54: 82191980
	v_fma_f32 v160, v12, v4, v160                              // 00000000CE58: D1CB00A0 0682090C
	v_fma_f32 v161, v13, v4, v161                              // 00000000CE60: D1CB00A1 0686090D
	v_fma_f32 v162, v14, v4, v162                              // 00000000CE68: D1CB00A2 068A090E
	v_fma_f32 v163, v15, v4, v163                              // 00000000CE70: D1CB00A3 068E090F
	v_mfma_f32_16x16x32_fp8_fp8 v[12:15], a[152:153], a[24:25], 0// 00000000CE78: D3F3000C 1A023198
	buffer_load_dwordx4 a[92:95], v49, s[84:87], 0 offen offset:1024// 00000000CE80: E05C1400 80955C31
	s_add_u32 s20, s57, s20                                    // 00000000CE88: 80141439
	s_addc_u32 s21, 0, s21                                     // 00000000CE8C: 82151580
	s_add_u32 s28, s3, s28                                     // 00000000CE90: 801C1C03
	s_addc_u32 s29, 0, s29                                     // 00000000CE94: 821D1D80
	v_mfma_f32_16x16x32_fp8_fp8 v[12:15], a[154:155], a[26:27], v[12:15]// 00000000CE98: D3F3000C 1C32359A
	s_add_u32 s84, s83, s84                                    // 00000000CEA0: 80545453
	s_addc_u32 s85, 0, s85                                     // 00000000CEA4: 82555580
	v_mfma_f32_16x16x32_fp8_fp8 v[12:15], a[156:157], a[28:29], v[12:15]// 00000000CEA8: D3F3000C 1C32399C
	s_add_u32 s32, s4, s32                                     // 00000000CEB0: 80202004
	s_addc_u32 s33, 0, s33                                     // 00000000CEB4: 82212180
	v_mfma_f32_16x16x32_fp8_fp8 v[12:15], a[158:159], a[30:31], v[12:15]// 00000000CEB8: D3F3000C 1C323D9E
	v_fma_f32 v168, v8, v6, v168                               // 00000000CEC0: D1CB00A8 06A20D08
	v_fma_f32 v169, v9, v6, v169                               // 00000000CEC8: D1CB00A9 06A60D09
	v_fma_f32 v170, v10, v6, v170                              // 00000000CED0: D1CB00AA 06AA0D0A
	v_fma_f32 v171, v11, v6, v171                              // 00000000CED8: D1CB00AB 06AE0D0B
	v_fma_f32 v176, v12, v6, v176                              // 00000000CEE0: D1CB00B0 06C20D0C
	v_fma_f32 v177, v13, v6, v177                              // 00000000CEE8: D1CB00B1 06C60D0D
	v_fma_f32 v178, v14, v6, v178                              // 00000000CEF0: D1CB00B2 06CA0D0E
	v_fma_f32 v179, v15, v6, v179                              // 00000000CEF8: D1CB00B3 06CE0D0F
	s_addk_i32 s80, 0x80                                       // 00000000CF00: B7500080
	s_cmp_lt_i32 s80, s81                                      // 00000000CF04: BF045150
	s_cbranch_scc0 label_2E81                                  // 00000000CF08: BF84053B
	s_waitcnt vmcnt(23) lgkmcnt(0)                             // 00000000CF0C: BF8C4077
	v_mul_f32_dpp v4, v25, v34 row_newbcast:0 row_mask:0xf bank_mask:0xf// 00000000CF10: 0A0844FA FF015019
	v_mfma_f32_16x16x32_fp8_fp8 v[8:11], a[160:161], a[0:1], 0 // 00000000CF18: D3F30008 1A0201A0
	buffer_load_dword v26, v22, s[32:35], 0 offen              // 00000000CF20: E0501000 80081A16
	buffer_load_dwordx4 a[96:99], v42, s[24:27], 0 offen       // 00000000CF28: E05C1000 8086602A
	v_mfma_f32_16x16x32_fp8_fp8 v[8:11], a[162:163], a[2:3], v[8:11]// 00000000CF30: D3F30008 1C2205A2
	v_mfma_f32_16x16x32_fp8_fp8 v[8:11], a[164:165], a[4:5], v[8:11]// 00000000CF38: D3F30008 1C2209A4
	v_mfma_f32_16x16x32_fp8_fp8 v[8:11], a[166:167], a[6:7], v[8:11]// 00000000CF40: D3F30008 1C220DA6
	v_mfma_f32_16x16x32_fp8_fp8 v[12:15], a[168:169], a[0:1], 0// 00000000CF48: D3F3000C 1A0201A8
	buffer_load_dwordx4 a[100:103], v42, s[24:27], 0 offen offset:1024// 00000000CF50: E05C1400 8086642A
	v_mfma_f32_16x16x32_fp8_fp8 v[12:15], a[170:171], a[2:3], v[12:15]// 00000000CF58: D3F3000C 1C3205AA
	v_mfma_f32_16x16x32_fp8_fp8 v[12:15], a[172:173], a[4:5], v[12:15]// 00000000CF60: D3F3000C 1C3209AC
	v_mfma_f32_16x16x32_fp8_fp8 v[12:15], a[174:175], a[6:7], v[12:15]// 00000000CF68: D3F3000C 1C320DAE
	v_fma_f32 v52, v8, v4, v52                                 // 00000000CF70: D1CB0034 04D20908
	v_fma_f32 v53, v9, v4, v53                                 // 00000000CF78: D1CB0035 04D60909
	v_fma_f32 v54, v10, v4, v54                                // 00000000CF80: D1CB0036 04DA090A
	v_fma_f32 v55, v11, v4, v55                                // 00000000CF88: D1CB0037 04DE090B
	v_mul_f32_dpp v6, v25, v34 row_newbcast:1 row_mask:0xf bank_mask:0xf// 00000000CF90: 0A0C44FA FF015119
	v_mfma_f32_16x16x32_fp8_fp8 v[8:11], a[176:177], a[0:1], 0 // 00000000CF98: D3F30008 1A0201B0
	buffer_load_dwordx4 a[104:107], v43, s[24:27], 0 offen     // 00000000CFA0: E05C1000 8086682B
	v_mfma_f32_16x16x32_fp8_fp8 v[8:11], a[178:179], a[2:3], v[8:11]// 00000000CFA8: D3F30008 1C2205B2
	v_mfma_f32_16x16x32_fp8_fp8 v[8:11], a[180:181], a[4:5], v[8:11]// 00000000CFB0: D3F30008 1C2209B4
	v_mfma_f32_16x16x32_fp8_fp8 v[8:11], a[182:183], a[6:7], v[8:11]// 00000000CFB8: D3F30008 1C220DB6
	v_fma_f32 v60, v12, v4, v60                                // 00000000CFC0: D1CB003C 04F2090C
	v_fma_f32 v61, v13, v4, v61                                // 00000000CFC8: D1CB003D 04F6090D
	v_fma_f32 v62, v14, v4, v62                                // 00000000CFD0: D1CB003E 04FA090E
	v_fma_f32 v63, v15, v4, v63                                // 00000000CFD8: D1CB003F 04FE090F
	v_mfma_f32_16x16x32_fp8_fp8 v[12:15], a[184:185], a[0:1], 0// 00000000CFE0: D3F3000C 1A0201B8
	buffer_load_dwordx4 a[108:111], v43, s[24:27], 0 offen offset:1024// 00000000CFE8: E05C1400 80866C2B
	v_mfma_f32_16x16x32_fp8_fp8 v[12:15], a[186:187], a[2:3], v[12:15]// 00000000CFF0: D3F3000C 1C3205BA
	v_mfma_f32_16x16x32_fp8_fp8 v[12:15], a[188:189], a[4:5], v[12:15]// 00000000CFF8: D3F3000C 1C3209BC
	v_mfma_f32_16x16x32_fp8_fp8 v[12:15], a[190:191], a[6:7], v[12:15]// 00000000D000: D3F3000C 1C320DBE
	v_fma_f32 v68, v8, v6, v68                                 // 00000000D008: D1CB0044 05120D08
	v_fma_f32 v69, v9, v6, v69                                 // 00000000D010: D1CB0045 05160D09
	v_fma_f32 v70, v10, v6, v70                                // 00000000D018: D1CB0046 051A0D0A
	v_fma_f32 v71, v11, v6, v71                                // 00000000D020: D1CB0047 051E0D0B
	v_mul_f32_dpp v4, v25, v34 row_newbcast:2 row_mask:0xf bank_mask:0xf// 00000000D028: 0A0844FA FF015219
	v_mfma_f32_16x16x32_fp8_fp8 v[8:11], a[192:193], a[0:1], 0 // 00000000D030: D3F30008 1A0201C0
	buffer_load_dwordx4 a[112:115], v44, s[24:27], 0 offen     // 00000000D038: E05C1000 8086702C
	v_mfma_f32_16x16x32_fp8_fp8 v[8:11], a[194:195], a[2:3], v[8:11]// 00000000D040: D3F30008 1C2205C2
	v_mfma_f32_16x16x32_fp8_fp8 v[8:11], a[196:197], a[4:5], v[8:11]// 00000000D048: D3F30008 1C2209C4
	v_mfma_f32_16x16x32_fp8_fp8 v[8:11], a[198:199], a[6:7], v[8:11]// 00000000D050: D3F30008 1C220DC6
	v_fma_f32 v76, v12, v6, v76                                // 00000000D058: D1CB004C 05320D0C
	v_fma_f32 v77, v13, v6, v77                                // 00000000D060: D1CB004D 05360D0D
	v_fma_f32 v78, v14, v6, v78                                // 00000000D068: D1CB004E 053A0D0E
	v_fma_f32 v79, v15, v6, v79                                // 00000000D070: D1CB004F 053E0D0F
	v_mfma_f32_16x16x32_fp8_fp8 v[12:15], a[200:201], a[0:1], 0// 00000000D078: D3F3000C 1A0201C8
	buffer_load_dwordx4 a[116:119], v44, s[24:27], 0 offen offset:1024// 00000000D080: E05C1400 8086742C
	v_mfma_f32_16x16x32_fp8_fp8 v[12:15], a[202:203], a[2:3], v[12:15]// 00000000D088: D3F3000C 1C3205CA
	v_mfma_f32_16x16x32_fp8_fp8 v[12:15], a[204:205], a[4:5], v[12:15]// 00000000D090: D3F3000C 1C3209CC
	v_mfma_f32_16x16x32_fp8_fp8 v[12:15], a[206:207], a[6:7], v[12:15]// 00000000D098: D3F3000C 1C320DCE
	v_fma_f32 v84, v8, v4, v84                                 // 00000000D0A0: D1CB0054 05520908
	v_fma_f32 v85, v9, v4, v85                                 // 00000000D0A8: D1CB0055 05560909
	v_fma_f32 v86, v10, v4, v86                                // 00000000D0B0: D1CB0056 055A090A
	v_fma_f32 v87, v11, v4, v87                                // 00000000D0B8: D1CB0057 055E090B
	v_mul_f32_dpp v6, v25, v34 row_newbcast:3 row_mask:0xf bank_mask:0xf// 00000000D0C0: 0A0C44FA FF015319
	v_mfma_f32_16x16x32_fp8_fp8 v[8:11], a[208:209], a[0:1], 0 // 00000000D0C8: D3F30008 1A0201D0
	buffer_load_dwordx4 a[120:123], v45, s[24:27], 0 offen     // 00000000D0D0: E05C1000 8086782D
	v_mfma_f32_16x16x32_fp8_fp8 v[8:11], a[210:211], a[2:3], v[8:11]// 00000000D0D8: D3F30008 1C2205D2
	v_mfma_f32_16x16x32_fp8_fp8 v[8:11], a[212:213], a[4:5], v[8:11]// 00000000D0E0: D3F30008 1C2209D4
	v_mfma_f32_16x16x32_fp8_fp8 v[8:11], a[214:215], a[6:7], v[8:11]// 00000000D0E8: D3F30008 1C220DD6
	v_fma_f32 v92, v12, v4, v92                                // 00000000D0F0: D1CB005C 0572090C
	v_fma_f32 v93, v13, v4, v93                                // 00000000D0F8: D1CB005D 0576090D
	v_fma_f32 v94, v14, v4, v94                                // 00000000D100: D1CB005E 057A090E
	v_fma_f32 v95, v15, v4, v95                                // 00000000D108: D1CB005F 057E090F
	v_mfma_f32_16x16x32_fp8_fp8 v[12:15], a[216:217], a[0:1], 0// 00000000D110: D3F3000C 1A0201D8
	buffer_load_dwordx4 a[124:127], v45, s[24:27], 0 offen offset:1024// 00000000D118: E05C1400 80867C2D
	v_mfma_f32_16x16x32_fp8_fp8 v[12:15], a[218:219], a[2:3], v[12:15]// 00000000D120: D3F3000C 1C3205DA
	v_mfma_f32_16x16x32_fp8_fp8 v[12:15], a[220:221], a[4:5], v[12:15]// 00000000D128: D3F3000C 1C3209DC
	v_mfma_f32_16x16x32_fp8_fp8 v[12:15], a[222:223], a[6:7], v[12:15]// 00000000D130: D3F3000C 1C320DDE
	v_fma_f32 v100, v8, v6, v100                               // 00000000D138: D1CB0064 05920D08
	v_fma_f32 v101, v9, v6, v101                               // 00000000D140: D1CB0065 05960D09
	v_fma_f32 v102, v10, v6, v102                              // 00000000D148: D1CB0066 059A0D0A
	v_fma_f32 v103, v11, v6, v103                              // 00000000D150: D1CB0067 059E0D0B
	v_mul_f32_dpp v4, v25, v35 row_newbcast:0 row_mask:0xf bank_mask:0xf// 00000000D158: 0A0846FA FF015019
	v_mfma_f32_16x16x32_fp8_fp8 v[8:11], a[160:161], a[8:9], 0 // 00000000D160: D3F30008 1A0211A0
	buffer_load_dwordx4 a[128:131], v46, s[24:27], 0 offen     // 00000000D168: E05C1000 8086802E
	v_mfma_f32_16x16x32_fp8_fp8 v[8:11], a[162:163], a[10:11], v[8:11]// 00000000D170: D3F30008 1C2215A2
	v_mfma_f32_16x16x32_fp8_fp8 v[8:11], a[164:165], a[12:13], v[8:11]// 00000000D178: D3F30008 1C2219A4
	v_mfma_f32_16x16x32_fp8_fp8 v[8:11], a[166:167], a[14:15], v[8:11]// 00000000D180: D3F30008 1C221DA6
	v_fma_f32 v108, v12, v6, v108                              // 00000000D188: D1CB006C 05B20D0C
	v_fma_f32 v109, v13, v6, v109                              // 00000000D190: D1CB006D 05B60D0D
	v_fma_f32 v110, v14, v6, v110                              // 00000000D198: D1CB006E 05BA0D0E
	v_fma_f32 v111, v15, v6, v111                              // 00000000D1A0: D1CB006F 05BE0D0F
	v_mfma_f32_16x16x32_fp8_fp8 v[12:15], a[168:169], a[8:9], 0// 00000000D1A8: D3F3000C 1A0211A8
	buffer_load_dwordx4 a[132:135], v46, s[24:27], 0 offen offset:1024// 00000000D1B0: E05C1400 8086842E
	v_mfma_f32_16x16x32_fp8_fp8 v[12:15], a[170:171], a[10:11], v[12:15]// 00000000D1B8: D3F3000C 1C3215AA
	v_mfma_f32_16x16x32_fp8_fp8 v[12:15], a[172:173], a[12:13], v[12:15]// 00000000D1C0: D3F3000C 1C3219AC
	v_mfma_f32_16x16x32_fp8_fp8 v[12:15], a[174:175], a[14:15], v[12:15]// 00000000D1C8: D3F3000C 1C321DAE
	v_fma_f32 v56, v8, v4, v56                                 // 00000000D1D0: D1CB0038 04E20908
	v_fma_f32 v57, v9, v4, v57                                 // 00000000D1D8: D1CB0039 04E60909
	v_fma_f32 v58, v10, v4, v58                                // 00000000D1E0: D1CB003A 04EA090A
	v_fma_f32 v59, v11, v4, v59                                // 00000000D1E8: D1CB003B 04EE090B
	v_mul_f32_dpp v6, v25, v35 row_newbcast:1 row_mask:0xf bank_mask:0xf// 00000000D1F0: 0A0C46FA FF015119
	v_mfma_f32_16x16x32_fp8_fp8 v[8:11], a[176:177], a[8:9], 0 // 00000000D1F8: D3F30008 1A0211B0
	buffer_load_dwordx4 a[136:139], v47, s[24:27], 0 offen     // 00000000D200: E05C1000 8086882F
	v_mfma_f32_16x16x32_fp8_fp8 v[8:11], a[178:179], a[10:11], v[8:11]// 00000000D208: D3F30008 1C2215B2
	v_mfma_f32_16x16x32_fp8_fp8 v[8:11], a[180:181], a[12:13], v[8:11]// 00000000D210: D3F30008 1C2219B4
	v_mfma_f32_16x16x32_fp8_fp8 v[8:11], a[182:183], a[14:15], v[8:11]// 00000000D218: D3F30008 1C221DB6
	v_fma_f32 v64, v12, v4, v64                                // 00000000D220: D1CB0040 0502090C
	v_fma_f32 v65, v13, v4, v65                                // 00000000D228: D1CB0041 0506090D
	v_fma_f32 v66, v14, v4, v66                                // 00000000D230: D1CB0042 050A090E
	v_fma_f32 v67, v15, v4, v67                                // 00000000D238: D1CB0043 050E090F
	v_mfma_f32_16x16x32_fp8_fp8 v[12:15], a[184:185], a[8:9], 0// 00000000D240: D3F3000C 1A0211B8
	buffer_load_dwordx4 a[140:143], v47, s[24:27], 0 offen offset:1024// 00000000D248: E05C1400 80868C2F
	v_mfma_f32_16x16x32_fp8_fp8 v[12:15], a[186:187], a[10:11], v[12:15]// 00000000D250: D3F3000C 1C3215BA
	v_mfma_f32_16x16x32_fp8_fp8 v[12:15], a[188:189], a[12:13], v[12:15]// 00000000D258: D3F3000C 1C3219BC
	v_mfma_f32_16x16x32_fp8_fp8 v[12:15], a[190:191], a[14:15], v[12:15]// 00000000D260: D3F3000C 1C321DBE
	v_fma_f32 v72, v8, v6, v72                                 // 00000000D268: D1CB0048 05220D08
	v_fma_f32 v73, v9, v6, v73                                 // 00000000D270: D1CB0049 05260D09
	v_fma_f32 v74, v10, v6, v74                                // 00000000D278: D1CB004A 052A0D0A
	v_fma_f32 v75, v11, v6, v75                                // 00000000D280: D1CB004B 052E0D0B
	v_mul_f32_dpp v4, v25, v35 row_newbcast:2 row_mask:0xf bank_mask:0xf// 00000000D288: 0A0846FA FF015219
	v_mfma_f32_16x16x32_fp8_fp8 v[8:11], a[192:193], a[8:9], 0 // 00000000D290: D3F30008 1A0211C0
	buffer_load_dwordx4 a[144:147], v48, s[24:27], 0 offen     // 00000000D298: E05C1000 80869030
	v_mfma_f32_16x16x32_fp8_fp8 v[8:11], a[194:195], a[10:11], v[8:11]// 00000000D2A0: D3F30008 1C2215C2
	v_mfma_f32_16x16x32_fp8_fp8 v[8:11], a[196:197], a[12:13], v[8:11]// 00000000D2A8: D3F30008 1C2219C4
	v_mfma_f32_16x16x32_fp8_fp8 v[8:11], a[198:199], a[14:15], v[8:11]// 00000000D2B0: D3F30008 1C221DC6
	v_fma_f32 v80, v12, v6, v80                                // 00000000D2B8: D1CB0050 05420D0C
	v_fma_f32 v81, v13, v6, v81                                // 00000000D2C0: D1CB0051 05460D0D
	v_fma_f32 v82, v14, v6, v82                                // 00000000D2C8: D1CB0052 054A0D0E
	v_fma_f32 v83, v15, v6, v83                                // 00000000D2D0: D1CB0053 054E0D0F
	v_mfma_f32_16x16x32_fp8_fp8 v[12:15], a[200:201], a[8:9], 0// 00000000D2D8: D3F3000C 1A0211C8
	buffer_load_dwordx4 a[148:151], v48, s[24:27], 0 offen offset:1024// 00000000D2E0: E05C1400 80869430
	v_mfma_f32_16x16x32_fp8_fp8 v[12:15], a[202:203], a[10:11], v[12:15]// 00000000D2E8: D3F3000C 1C3215CA
	v_mfma_f32_16x16x32_fp8_fp8 v[12:15], a[204:205], a[12:13], v[12:15]// 00000000D2F0: D3F3000C 1C3219CC
	v_mfma_f32_16x16x32_fp8_fp8 v[12:15], a[206:207], a[14:15], v[12:15]// 00000000D2F8: D3F3000C 1C321DCE
	v_fma_f32 v88, v8, v4, v88                                 // 00000000D300: D1CB0058 05620908
	v_fma_f32 v89, v9, v4, v89                                 // 00000000D308: D1CB0059 05660909
	v_fma_f32 v90, v10, v4, v90                                // 00000000D310: D1CB005A 056A090A
	v_fma_f32 v91, v11, v4, v91                                // 00000000D318: D1CB005B 056E090B
	v_mul_f32_dpp v6, v25, v35 row_newbcast:3 row_mask:0xf bank_mask:0xf// 00000000D320: 0A0C46FA FF015319
	v_mfma_f32_16x16x32_fp8_fp8 v[8:11], a[208:209], a[8:9], 0 // 00000000D328: D3F30008 1A0211D0
	buffer_load_dwordx4 a[152:155], v49, s[24:27], 0 offen     // 00000000D330: E05C1000 80869831
	v_mfma_f32_16x16x32_fp8_fp8 v[8:11], a[210:211], a[10:11], v[8:11]// 00000000D338: D3F30008 1C2215D2
	v_mfma_f32_16x16x32_fp8_fp8 v[8:11], a[212:213], a[12:13], v[8:11]// 00000000D340: D3F30008 1C2219D4
	v_mfma_f32_16x16x32_fp8_fp8 v[8:11], a[214:215], a[14:15], v[8:11]// 00000000D348: D3F30008 1C221DD6
	v_fma_f32 v96, v12, v4, v96                                // 00000000D350: D1CB0060 0582090C
	v_fma_f32 v97, v13, v4, v97                                // 00000000D358: D1CB0061 0586090D
	v_fma_f32 v98, v14, v4, v98                                // 00000000D360: D1CB0062 058A090E
	v_fma_f32 v99, v15, v4, v99                                // 00000000D368: D1CB0063 058E090F
	v_mfma_f32_16x16x32_fp8_fp8 v[12:15], a[216:217], a[8:9], 0// 00000000D370: D3F3000C 1A0211D8
	buffer_load_dwordx4 a[156:159], v49, s[24:27], 0 offen offset:1024// 00000000D378: E05C1400 80869C31
	buffer_load_dword v38, s[20:23], 0 offen lds               // 00000000D380: E0511000 80050026
	s_add_u32 m0, 0x100, s48                                   // 00000000D388: 807C30FF 00000100
	v_mfma_f32_16x16x32_fp8_fp8 v[12:15], a[218:219], a[10:11], v[12:15]// 00000000D390: D3F3000C 1C3215DA
	v_mfma_f32_16x16x32_fp8_fp8 v[12:15], a[220:221], a[12:13], v[12:15]// 00000000D398: D3F3000C 1C3219DC
	buffer_load_dword v39, s[20:23], 0 offen lds               // 00000000D3A0: E0511000 80050027
	s_add_u32 m0, 0x200, s48                                   // 00000000D3A8: 807C30FF 00000200
	v_mfma_f32_16x16x32_fp8_fp8 v[12:15], a[222:223], a[14:15], v[12:15]// 00000000D3B0: D3F3000C 1C321DDE
	v_fma_f32 v104, v8, v6, v104                               // 00000000D3B8: D1CB0068 05A20D08
	v_fma_f32 v105, v9, v6, v105                               // 00000000D3C0: D1CB0069 05A60D09
	v_fma_f32 v106, v10, v6, v106                              // 00000000D3C8: D1CB006A 05AA0D0A
	v_fma_f32 v107, v11, v6, v107                              // 00000000D3D0: D1CB006B 05AE0D0B
	v_fma_f32 v112, v12, v6, v112                              // 00000000D3D8: D1CB0070 05C20D0C
	v_fma_f32 v113, v13, v6, v113                              // 00000000D3E0: D1CB0071 05C60D0D
	v_fma_f32 v114, v14, v6, v114                              // 00000000D3E8: D1CB0072 05CA0D0E
	v_fma_f32 v115, v15, v6, v115                              // 00000000D3F0: D1CB0073 05CE0D0F
	buffer_load_dword v40, s[20:23], 0 offen lds               // 00000000D3F8: E0511000 80050028
	s_add_u32 m0, 0x300, s48                                   // 00000000D400: 807C30FF 00000300
	buffer_load_dword v41, s[20:23], 0 offen lds               // 00000000D408: E0511000 80050029
	s_add_u32 m0, 0, s49                                       // 00000000D410: 807C3180
	buffer_load_dword v32, v30, s[28:31], 0 offen              // 00000000D414: E0501000 8007201E
	buffer_load_dword v33, v31, s[28:31], 0 offen              // 00000000D41C: E0501000 8007211F
	s_waitcnt vmcnt(23)                                        // 00000000D424: BF8C4F77
	s_barrier                                                  // 00000000D428: BF8A0000
	v_mul_f32_dpp v4, v28, v34 row_newbcast:0 row_mask:0xf bank_mask:0xf// 00000000D42C: 0A0844FA FF01501C
	v_mfma_f32_16x16x32_fp8_fp8 v[8:11], a[32:33], a[0:1], 0   // 00000000D434: D3F30008 1A020120
	buffer_load_dword v29, v23, s[32:35], 0 offen              // 00000000D43C: E0501000 80081D17
	buffer_load_dwordx4 a[160:163], v42, s[84:87], 0 offen     // 00000000D444: E05C1000 8095A02A
	v_mfma_f32_16x16x32_fp8_fp8 v[8:11], a[34:35], a[2:3], v[8:11]// 00000000D44C: D3F30008 1C220522
	v_mfma_f32_16x16x32_fp8_fp8 v[8:11], a[36:37], a[4:5], v[8:11]// 00000000D454: D3F30008 1C220924
	ds_read_b128 a[16:19], v2 offset:8448                      // 00000000D45C: DBFE2100 10000002
	ds_read_b128 a[20:23], v2 offset:8512                      // 00000000D464: DBFE2140 14000002
	v_mfma_f32_16x16x32_fp8_fp8 v[8:11], a[38:39], a[6:7], v[8:11]// 00000000D46C: D3F30008 1C220D26
	v_mfma_f32_16x16x32_fp8_fp8 v[12:15], a[40:41], a[0:1], 0  // 00000000D474: D3F3000C 1A020128
	buffer_load_dwordx4 a[164:167], v42, s[84:87], 0 offen offset:1024// 00000000D47C: E05C1400 8095A42A
	v_mfma_f32_16x16x32_fp8_fp8 v[12:15], a[42:43], a[2:3], v[12:15]// 00000000D484: D3F3000C 1C32052A
	v_mfma_f32_16x16x32_fp8_fp8 v[12:15], a[44:45], a[4:5], v[12:15]// 00000000D48C: D3F3000C 1C32092C
	ds_read_b128 a[24:27], v2 offset:8960                      // 00000000D494: DBFE2300 18000002
	ds_read_b128 a[28:31], v2 offset:9024                      // 00000000D49C: DBFE2340 1C000002
	v_mfma_f32_16x16x32_fp8_fp8 v[12:15], a[46:47], a[6:7], v[12:15]// 00000000D4A4: D3F3000C 1C320D2E
	v_fma_f32 v116, v8, v4, v116                               // 00000000D4AC: D1CB0074 05D20908
	v_fma_f32 v117, v9, v4, v117                               // 00000000D4B4: D1CB0075 05D60909
	v_fma_f32 v118, v10, v4, v118                              // 00000000D4BC: D1CB0076 05DA090A
	v_fma_f32 v119, v11, v4, v119                              // 00000000D4C4: D1CB0077 05DE090B
	v_mul_f32_dpp v6, v28, v34 row_newbcast:1 row_mask:0xf bank_mask:0xf// 00000000D4CC: 0A0C44FA FF01511C
	v_mfma_f32_16x16x32_fp8_fp8 v[8:11], a[48:49], a[0:1], 0   // 00000000D4D4: D3F30008 1A020130
	buffer_load_dwordx4 a[168:171], v43, s[84:87], 0 offen     // 00000000D4DC: E05C1000 8095A82B
	v_mfma_f32_16x16x32_fp8_fp8 v[8:11], a[50:51], a[2:3], v[8:11]// 00000000D4E4: D3F30008 1C220532
	v_mfma_f32_16x16x32_fp8_fp8 v[8:11], a[52:53], a[4:5], v[8:11]// 00000000D4EC: D3F30008 1C220934
	v_mfma_f32_16x16x32_fp8_fp8 v[8:11], a[54:55], a[6:7], v[8:11]// 00000000D4F4: D3F30008 1C220D36
	v_fma_f32 v124, v12, v4, v124                              // 00000000D4FC: D1CB007C 05F2090C
	v_fma_f32 v125, v13, v4, v125                              // 00000000D504: D1CB007D 05F6090D
	v_fma_f32 v126, v14, v4, v126                              // 00000000D50C: D1CB007E 05FA090E
	v_fma_f32 v127, v15, v4, v127                              // 00000000D514: D1CB007F 05FE090F
	v_mfma_f32_16x16x32_fp8_fp8 v[12:15], a[56:57], a[0:1], 0  // 00000000D51C: D3F3000C 1A020138
	buffer_load_dwordx4 a[172:175], v43, s[84:87], 0 offen offset:1024// 00000000D524: E05C1400 8095AC2B
	v_mfma_f32_16x16x32_fp8_fp8 v[12:15], a[58:59], a[2:3], v[12:15]// 00000000D52C: D3F3000C 1C32053A
	v_mfma_f32_16x16x32_fp8_fp8 v[12:15], a[60:61], a[4:5], v[12:15]// 00000000D534: D3F3000C 1C32093C
	v_mfma_f32_16x16x32_fp8_fp8 v[12:15], a[62:63], a[6:7], v[12:15]// 00000000D53C: D3F3000C 1C320D3E
	v_fma_f32 v132, v8, v6, v132                               // 00000000D544: D1CB0084 06120D08
	v_fma_f32 v133, v9, v6, v133                               // 00000000D54C: D1CB0085 06160D09
	v_fma_f32 v134, v10, v6, v134                              // 00000000D554: D1CB0086 061A0D0A
	v_fma_f32 v135, v11, v6, v135                              // 00000000D55C: D1CB0087 061E0D0B
	v_mul_f32_dpp v4, v28, v34 row_newbcast:2 row_mask:0xf bank_mask:0xf// 00000000D564: 0A0844FA FF01521C
	v_mfma_f32_16x16x32_fp8_fp8 v[8:11], a[64:65], a[0:1], 0   // 00000000D56C: D3F30008 1A020140
	buffer_load_dwordx4 a[176:179], v44, s[84:87], 0 offen     // 00000000D574: E05C1000 8095B02C
	v_mfma_f32_16x16x32_fp8_fp8 v[8:11], a[66:67], a[2:3], v[8:11]// 00000000D57C: D3F30008 1C220542
	v_mfma_f32_16x16x32_fp8_fp8 v[8:11], a[68:69], a[4:5], v[8:11]// 00000000D584: D3F30008 1C220944
	v_mfma_f32_16x16x32_fp8_fp8 v[8:11], a[70:71], a[6:7], v[8:11]// 00000000D58C: D3F30008 1C220D46
	v_fma_f32 v140, v12, v6, v140                              // 00000000D594: D1CB008C 06320D0C
	v_fma_f32 v141, v13, v6, v141                              // 00000000D59C: D1CB008D 06360D0D
	v_fma_f32 v142, v14, v6, v142                              // 00000000D5A4: D1CB008E 063A0D0E
	v_fma_f32 v143, v15, v6, v143                              // 00000000D5AC: D1CB008F 063E0D0F
	v_mfma_f32_16x16x32_fp8_fp8 v[12:15], a[72:73], a[0:1], 0  // 00000000D5B4: D3F3000C 1A020148
	buffer_load_dwordx4 a[180:183], v44, s[84:87], 0 offen offset:1024// 00000000D5BC: E05C1400 8095B42C
	v_mfma_f32_16x16x32_fp8_fp8 v[12:15], a[74:75], a[2:3], v[12:15]// 00000000D5C4: D3F3000C 1C32054A
	v_mfma_f32_16x16x32_fp8_fp8 v[12:15], a[76:77], a[4:5], v[12:15]// 00000000D5CC: D3F3000C 1C32094C
	v_mfma_f32_16x16x32_fp8_fp8 v[12:15], a[78:79], a[6:7], v[12:15]// 00000000D5D4: D3F3000C 1C320D4E
	v_fma_f32 v148, v8, v4, v148                               // 00000000D5DC: D1CB0094 06520908
	v_fma_f32 v149, v9, v4, v149                               // 00000000D5E4: D1CB0095 06560909
	v_fma_f32 v150, v10, v4, v150                              // 00000000D5EC: D1CB0096 065A090A
	v_fma_f32 v151, v11, v4, v151                              // 00000000D5F4: D1CB0097 065E090B
	v_mul_f32_dpp v6, v28, v34 row_newbcast:3 row_mask:0xf bank_mask:0xf// 00000000D5FC: 0A0C44FA FF01531C
	v_mfma_f32_16x16x32_fp8_fp8 v[8:11], a[80:81], a[0:1], 0   // 00000000D604: D3F30008 1A020150
	buffer_load_dwordx4 a[184:187], v45, s[84:87], 0 offen     // 00000000D60C: E05C1000 8095B82D
	v_mfma_f32_16x16x32_fp8_fp8 v[8:11], a[82:83], a[2:3], v[8:11]// 00000000D614: D3F30008 1C220552
	v_mfma_f32_16x16x32_fp8_fp8 v[8:11], a[84:85], a[4:5], v[8:11]// 00000000D61C: D3F30008 1C220954
	v_mfma_f32_16x16x32_fp8_fp8 v[8:11], a[86:87], a[6:7], v[8:11]// 00000000D624: D3F30008 1C220D56
	v_fma_f32 v156, v12, v4, v156                              // 00000000D62C: D1CB009C 0672090C
	v_fma_f32 v157, v13, v4, v157                              // 00000000D634: D1CB009D 0676090D
	v_fma_f32 v158, v14, v4, v158                              // 00000000D63C: D1CB009E 067A090E
	v_fma_f32 v159, v15, v4, v159                              // 00000000D644: D1CB009F 067E090F
	v_mfma_f32_16x16x32_fp8_fp8 v[12:15], a[88:89], a[0:1], 0  // 00000000D64C: D3F3000C 1A020158
	buffer_load_dwordx4 a[188:191], v45, s[84:87], 0 offen offset:1024// 00000000D654: E05C1400 8095BC2D
	v_mfma_f32_16x16x32_fp8_fp8 v[12:15], a[90:91], a[2:3], v[12:15]// 00000000D65C: D3F3000C 1C32055A
	v_mfma_f32_16x16x32_fp8_fp8 v[12:15], a[92:93], a[4:5], v[12:15]// 00000000D664: D3F3000C 1C32095C
	v_mfma_f32_16x16x32_fp8_fp8 v[12:15], a[94:95], a[6:7], v[12:15]// 00000000D66C: D3F3000C 1C320D5E
	v_fma_f32 v164, v8, v6, v164                               // 00000000D674: D1CB00A4 06920D08
	v_fma_f32 v165, v9, v6, v165                               // 00000000D67C: D1CB00A5 06960D09
	v_fma_f32 v166, v10, v6, v166                              // 00000000D684: D1CB00A6 069A0D0A
	v_fma_f32 v167, v11, v6, v167                              // 00000000D68C: D1CB00A7 069E0D0B
	v_mul_f32_dpp v4, v28, v35 row_newbcast:0 row_mask:0xf bank_mask:0xf// 00000000D694: 0A0846FA FF01501C
	v_mfma_f32_16x16x32_fp8_fp8 v[8:11], a[32:33], a[8:9], 0   // 00000000D69C: D3F30008 1A021120
	buffer_load_dwordx4 a[192:195], v46, s[84:87], 0 offen     // 00000000D6A4: E05C1000 8095C02E
	v_mfma_f32_16x16x32_fp8_fp8 v[8:11], a[34:35], a[10:11], v[8:11]// 00000000D6AC: D3F30008 1C221522
	v_mfma_f32_16x16x32_fp8_fp8 v[8:11], a[36:37], a[12:13], v[8:11]// 00000000D6B4: D3F30008 1C221924
	v_mfma_f32_16x16x32_fp8_fp8 v[8:11], a[38:39], a[14:15], v[8:11]// 00000000D6BC: D3F30008 1C221D26
	v_fma_f32 v172, v12, v6, v172                              // 00000000D6C4: D1CB00AC 06B20D0C
	v_fma_f32 v173, v13, v6, v173                              // 00000000D6CC: D1CB00AD 06B60D0D
	v_fma_f32 v174, v14, v6, v174                              // 00000000D6D4: D1CB00AE 06BA0D0E
	v_fma_f32 v175, v15, v6, v175                              // 00000000D6DC: D1CB00AF 06BE0D0F
	v_mfma_f32_16x16x32_fp8_fp8 v[12:15], a[40:41], a[8:9], 0  // 00000000D6E4: D3F3000C 1A021128
	buffer_load_dwordx4 a[196:199], v46, s[84:87], 0 offen offset:1024// 00000000D6EC: E05C1400 8095C42E
	v_mfma_f32_16x16x32_fp8_fp8 v[12:15], a[42:43], a[10:11], v[12:15]// 00000000D6F4: D3F3000C 1C32152A
	v_mfma_f32_16x16x32_fp8_fp8 v[12:15], a[44:45], a[12:13], v[12:15]// 00000000D6FC: D3F3000C 1C32192C
	v_mfma_f32_16x16x32_fp8_fp8 v[12:15], a[46:47], a[14:15], v[12:15]// 00000000D704: D3F3000C 1C321D2E
	v_fma_f32 v120, v8, v4, v120                               // 00000000D70C: D1CB0078 05E20908
	v_fma_f32 v121, v9, v4, v121                               // 00000000D714: D1CB0079 05E60909
	v_fma_f32 v122, v10, v4, v122                              // 00000000D71C: D1CB007A 05EA090A
	v_fma_f32 v123, v11, v4, v123                              // 00000000D724: D1CB007B 05EE090B
	v_mul_f32_dpp v6, v28, v35 row_newbcast:1 row_mask:0xf bank_mask:0xf// 00000000D72C: 0A0C46FA FF01511C
	v_mfma_f32_16x16x32_fp8_fp8 v[8:11], a[48:49], a[8:9], 0   // 00000000D734: D3F30008 1A021130
	buffer_load_dwordx4 a[200:203], v47, s[84:87], 0 offen     // 00000000D73C: E05C1000 8095C82F
	v_mfma_f32_16x16x32_fp8_fp8 v[8:11], a[50:51], a[10:11], v[8:11]// 00000000D744: D3F30008 1C221532
	v_mfma_f32_16x16x32_fp8_fp8 v[8:11], a[52:53], a[12:13], v[8:11]// 00000000D74C: D3F30008 1C221934
	v_mfma_f32_16x16x32_fp8_fp8 v[8:11], a[54:55], a[14:15], v[8:11]// 00000000D754: D3F30008 1C221D36
	v_fma_f32 v128, v12, v4, v128                              // 00000000D75C: D1CB0080 0602090C
	v_fma_f32 v129, v13, v4, v129                              // 00000000D764: D1CB0081 0606090D
	v_fma_f32 v130, v14, v4, v130                              // 00000000D76C: D1CB0082 060A090E
	v_fma_f32 v131, v15, v4, v131                              // 00000000D774: D1CB0083 060E090F
	v_mfma_f32_16x16x32_fp8_fp8 v[12:15], a[56:57], a[8:9], 0  // 00000000D77C: D3F3000C 1A021138
	buffer_load_dwordx4 a[204:207], v47, s[84:87], 0 offen offset:1024// 00000000D784: E05C1400 8095CC2F
	v_mfma_f32_16x16x32_fp8_fp8 v[12:15], a[58:59], a[10:11], v[12:15]// 00000000D78C: D3F3000C 1C32153A
	v_mfma_f32_16x16x32_fp8_fp8 v[12:15], a[60:61], a[12:13], v[12:15]// 00000000D794: D3F3000C 1C32193C
	v_mfma_f32_16x16x32_fp8_fp8 v[12:15], a[62:63], a[14:15], v[12:15]// 00000000D79C: D3F3000C 1C321D3E
	v_fma_f32 v136, v8, v6, v136                               // 00000000D7A4: D1CB0088 06220D08
	v_fma_f32 v137, v9, v6, v137                               // 00000000D7AC: D1CB0089 06260D09
	v_fma_f32 v138, v10, v6, v138                              // 00000000D7B4: D1CB008A 062A0D0A
	v_fma_f32 v139, v11, v6, v139                              // 00000000D7BC: D1CB008B 062E0D0B
	v_mul_f32_dpp v4, v28, v35 row_newbcast:2 row_mask:0xf bank_mask:0xf// 00000000D7C4: 0A0846FA FF01521C
	v_mfma_f32_16x16x32_fp8_fp8 v[8:11], a[64:65], a[8:9], 0   // 00000000D7CC: D3F30008 1A021140
	buffer_load_dwordx4 a[208:211], v48, s[84:87], 0 offen     // 00000000D7D4: E05C1000 8095D030
	v_mfma_f32_16x16x32_fp8_fp8 v[8:11], a[66:67], a[10:11], v[8:11]// 00000000D7DC: D3F30008 1C221542
	v_mfma_f32_16x16x32_fp8_fp8 v[8:11], a[68:69], a[12:13], v[8:11]// 00000000D7E4: D3F30008 1C221944
	v_mfma_f32_16x16x32_fp8_fp8 v[8:11], a[70:71], a[14:15], v[8:11]// 00000000D7EC: D3F30008 1C221D46
	v_fma_f32 v144, v12, v6, v144                              // 00000000D7F4: D1CB0090 06420D0C
	v_fma_f32 v145, v13, v6, v145                              // 00000000D7FC: D1CB0091 06460D0D
	v_fma_f32 v146, v14, v6, v146                              // 00000000D804: D1CB0092 064A0D0E
	v_fma_f32 v147, v15, v6, v147                              // 00000000D80C: D1CB0093 064E0D0F
	v_mfma_f32_16x16x32_fp8_fp8 v[12:15], a[72:73], a[8:9], 0  // 00000000D814: D3F3000C 1A021148
	buffer_load_dwordx4 a[212:215], v48, s[84:87], 0 offen offset:1024// 00000000D81C: E05C1400 8095D430
	v_mfma_f32_16x16x32_fp8_fp8 v[12:15], a[74:75], a[10:11], v[12:15]// 00000000D824: D3F3000C 1C32154A
	v_mfma_f32_16x16x32_fp8_fp8 v[12:15], a[76:77], a[12:13], v[12:15]// 00000000D82C: D3F3000C 1C32194C
	v_mfma_f32_16x16x32_fp8_fp8 v[12:15], a[78:79], a[14:15], v[12:15]// 00000000D834: D3F3000C 1C321D4E
	v_fma_f32 v152, v8, v4, v152                               // 00000000D83C: D1CB0098 06620908
	v_fma_f32 v153, v9, v4, v153                               // 00000000D844: D1CB0099 06660909
	v_fma_f32 v154, v10, v4, v154                              // 00000000D84C: D1CB009A 066A090A
	v_fma_f32 v155, v11, v4, v155                              // 00000000D854: D1CB009B 066E090B
	v_mul_f32_dpp v6, v28, v35 row_newbcast:3 row_mask:0xf bank_mask:0xf// 00000000D85C: 0A0C46FA FF01531C
	v_mfma_f32_16x16x32_fp8_fp8 v[8:11], a[80:81], a[8:9], 0   // 00000000D864: D3F30008 1A021150
	buffer_load_dwordx4 a[216:219], v49, s[84:87], 0 offen     // 00000000D86C: E05C1000 8095D831
	s_add_u32 s60, 0x180, s80                                  // 00000000D874: 803C50FF 00000180
	s_cmp_lt_u32 s60, s81                                      // 00000000D87C: BF0A513C
	s_cselect_b32 s57, s57, 0                                  // 00000000D880: 85398039
	s_cselect_b32 s3, s3, 0                                    // 00000000D884: 85038003
	v_mfma_f32_16x16x32_fp8_fp8 v[8:11], a[82:83], a[10:11], v[8:11]// 00000000D888: D3F30008 1C221552
	s_add_u32 s60, 0x100, s80                                  // 00000000D890: 803C50FF 00000100
	s_cmp_lt_u32 s60, s81                                      // 00000000D898: BF0A513C
	s_cselect_b32 s58, s58, 0                                  // 00000000D89C: 853A803A
	v_mfma_f32_16x16x32_fp8_fp8 v[8:11], a[84:85], a[12:13], v[8:11]// 00000000D8A0: D3F30008 1C221954
	s_add_u32 s60, 0x100, s80                                  // 00000000D8A8: 803C50FF 00000100
	s_cmp_lt_u32 s60, s81                                      // 00000000D8B0: BF0A513C
	s_cselect_b32 s83, s83, 0                                  // 00000000D8B4: 85538053
	s_cselect_b32 s4, s4, 0                                    // 00000000D8B8: 85048004
	v_mfma_f32_16x16x32_fp8_fp8 v[8:11], a[86:87], a[14:15], v[8:11]// 00000000D8BC: D3F30008 1C221D56
	s_add_u32 s24, s58, s24                                    // 00000000D8C4: 8018183A
	s_addc_u32 s25, 0, s25                                     // 00000000D8C8: 82191980
	v_fma_f32 v160, v12, v4, v160                              // 00000000D8CC: D1CB00A0 0682090C
	v_fma_f32 v161, v13, v4, v161                              // 00000000D8D4: D1CB00A1 0686090D
	v_fma_f32 v162, v14, v4, v162                              // 00000000D8DC: D1CB00A2 068A090E
	v_fma_f32 v163, v15, v4, v163                              // 00000000D8E4: D1CB00A3 068E090F
	v_mfma_f32_16x16x32_fp8_fp8 v[12:15], a[88:89], a[8:9], 0  // 00000000D8EC: D3F3000C 1A021158
	buffer_load_dwordx4 a[220:223], v49, s[84:87], 0 offen offset:1024// 00000000D8F4: E05C1400 8095DC31
	s_add_u32 s20, s57, s20                                    // 00000000D8FC: 80141439
	s_addc_u32 s21, 0, s21                                     // 00000000D900: 82151580
	s_add_u32 s28, s3, s28                                     // 00000000D904: 801C1C03
	s_addc_u32 s29, 0, s29                                     // 00000000D908: 821D1D80
	v_mfma_f32_16x16x32_fp8_fp8 v[12:15], a[90:91], a[10:11], v[12:15]// 00000000D90C: D3F3000C 1C32155A
	s_add_u32 s84, s83, s84                                    // 00000000D914: 80545453
	s_addc_u32 s85, 0, s85                                     // 00000000D918: 82555580
	v_mfma_f32_16x16x32_fp8_fp8 v[12:15], a[92:93], a[12:13], v[12:15]// 00000000D91C: D3F3000C 1C32195C
	s_add_u32 s32, s4, s32                                     // 00000000D924: 80202004
	s_addc_u32 s33, 0, s33                                     // 00000000D928: 82212180
	v_mfma_f32_16x16x32_fp8_fp8 v[12:15], a[94:95], a[14:15], v[12:15]// 00000000D92C: D3F3000C 1C321D5E
	v_fma_f32 v168, v8, v6, v168                               // 00000000D934: D1CB00A8 06A20D08
	v_fma_f32 v169, v9, v6, v169                               // 00000000D93C: D1CB00A9 06A60D09
	v_fma_f32 v170, v10, v6, v170                              // 00000000D944: D1CB00AA 06AA0D0A
	v_fma_f32 v171, v11, v6, v171                              // 00000000D94C: D1CB00AB 06AE0D0B
	v_fma_f32 v176, v12, v6, v176                              // 00000000D954: D1CB00B0 06C20D0C
	v_fma_f32 v177, v13, v6, v177                              // 00000000D95C: D1CB00B1 06C60D0D
	v_fma_f32 v178, v14, v6, v178                              // 00000000D964: D1CB00B2 06CA0D0E
	v_fma_f32 v179, v15, v6, v179                              // 00000000D96C: D1CB00B3 06CE0D0F
	s_addk_i32 s80, 0x80                                       // 00000000D974: B7500080
	s_cmp_lt_i32 s80, s81                                      // 00000000D978: BF045150
	s_cbranch_scc0 label_2E81                                  // 00000000D97C: BF84029E
	s_waitcnt vmcnt(23) lgkmcnt(0)                             // 00000000D980: BF8C4077
	v_mul_f32_dpp v4, v26, v36 row_newbcast:0 row_mask:0xf bank_mask:0xf// 00000000D984: 0A0848FA FF01501A
	v_mfma_f32_16x16x32_fp8_fp8 v[8:11], a[96:97], a[16:17], 0 // 00000000D98C: D3F30008 1A022160
	buffer_load_dword v24, v22, s[32:35], 0 offen              // 00000000D994: E0501000 80081816
	buffer_load_dwordx4 a[32:35], v42, s[24:27], 0 offen       // 00000000D99C: E05C1000 8086202A
	v_mfma_f32_16x16x32_fp8_fp8 v[8:11], a[98:99], a[18:19], v[8:11]// 00000000D9A4: D3F30008 1C222562
	v_mfma_f32_16x16x32_fp8_fp8 v[8:11], a[100:101], a[20:21], v[8:11]// 00000000D9AC: D3F30008 1C222964
	v_mfma_f32_16x16x32_fp8_fp8 v[8:11], a[102:103], a[22:23], v[8:11]// 00000000D9B4: D3F30008 1C222D66
	v_mfma_f32_16x16x32_fp8_fp8 v[12:15], a[104:105], a[16:17], 0// 00000000D9BC: D3F3000C 1A022168
	buffer_load_dwordx4 a[36:39], v42, s[24:27], 0 offen offset:1024// 00000000D9C4: E05C1400 8086242A
	v_mfma_f32_16x16x32_fp8_fp8 v[12:15], a[106:107], a[18:19], v[12:15]// 00000000D9CC: D3F3000C 1C32256A
	v_mfma_f32_16x16x32_fp8_fp8 v[12:15], a[108:109], a[20:21], v[12:15]// 00000000D9D4: D3F3000C 1C32296C
	v_mfma_f32_16x16x32_fp8_fp8 v[12:15], a[110:111], a[22:23], v[12:15]// 00000000D9DC: D3F3000C 1C322D6E
	v_fma_f32 v52, v8, v4, v52                                 // 00000000D9E4: D1CB0034 04D20908
	v_fma_f32 v53, v9, v4, v53                                 // 00000000D9EC: D1CB0035 04D60909
	v_fma_f32 v54, v10, v4, v54                                // 00000000D9F4: D1CB0036 04DA090A
	v_fma_f32 v55, v11, v4, v55                                // 00000000D9FC: D1CB0037 04DE090B
	v_mul_f32_dpp v6, v26, v36 row_newbcast:1 row_mask:0xf bank_mask:0xf// 00000000DA04: 0A0C48FA FF01511A
	v_mfma_f32_16x16x32_fp8_fp8 v[8:11], a[112:113], a[16:17], 0// 00000000DA0C: D3F30008 1A022170
	buffer_load_dwordx4 a[40:43], v43, s[24:27], 0 offen       // 00000000DA14: E05C1000 8086282B
	v_mfma_f32_16x16x32_fp8_fp8 v[8:11], a[114:115], a[18:19], v[8:11]// 00000000DA1C: D3F30008 1C222572
	v_mfma_f32_16x16x32_fp8_fp8 v[8:11], a[116:117], a[20:21], v[8:11]// 00000000DA24: D3F30008 1C222974
	v_mfma_f32_16x16x32_fp8_fp8 v[8:11], a[118:119], a[22:23], v[8:11]// 00000000DA2C: D3F30008 1C222D76
	v_fma_f32 v60, v12, v4, v60                                // 00000000DA34: D1CB003C 04F2090C
	v_fma_f32 v61, v13, v4, v61                                // 00000000DA3C: D1CB003D 04F6090D
	v_fma_f32 v62, v14, v4, v62                                // 00000000DA44: D1CB003E 04FA090E
	v_fma_f32 v63, v15, v4, v63                                // 00000000DA4C: D1CB003F 04FE090F
	v_mfma_f32_16x16x32_fp8_fp8 v[12:15], a[120:121], a[16:17], 0// 00000000DA54: D3F3000C 1A022178
	buffer_load_dwordx4 a[44:47], v43, s[24:27], 0 offen offset:1024// 00000000DA5C: E05C1400 80862C2B
	v_mfma_f32_16x16x32_fp8_fp8 v[12:15], a[122:123], a[18:19], v[12:15]// 00000000DA64: D3F3000C 1C32257A
	v_mfma_f32_16x16x32_fp8_fp8 v[12:15], a[124:125], a[20:21], v[12:15]// 00000000DA6C: D3F3000C 1C32297C
	v_mfma_f32_16x16x32_fp8_fp8 v[12:15], a[126:127], a[22:23], v[12:15]// 00000000DA74: D3F3000C 1C322D7E
	v_fma_f32 v68, v8, v6, v68                                 // 00000000DA7C: D1CB0044 05120D08
	v_fma_f32 v69, v9, v6, v69                                 // 00000000DA84: D1CB0045 05160D09
	v_fma_f32 v70, v10, v6, v70                                // 00000000DA8C: D1CB0046 051A0D0A
	v_fma_f32 v71, v11, v6, v71                                // 00000000DA94: D1CB0047 051E0D0B
	v_mul_f32_dpp v4, v26, v36 row_newbcast:2 row_mask:0xf bank_mask:0xf// 00000000DA9C: 0A0848FA FF01521A
	v_mfma_f32_16x16x32_fp8_fp8 v[8:11], a[128:129], a[16:17], 0// 00000000DAA4: D3F30008 1A022180
	buffer_load_dwordx4 a[48:51], v44, s[24:27], 0 offen       // 00000000DAAC: E05C1000 8086302C
	v_mfma_f32_16x16x32_fp8_fp8 v[8:11], a[130:131], a[18:19], v[8:11]// 00000000DAB4: D3F30008 1C222582
	v_mfma_f32_16x16x32_fp8_fp8 v[8:11], a[132:133], a[20:21], v[8:11]// 00000000DABC: D3F30008 1C222984
	v_mfma_f32_16x16x32_fp8_fp8 v[8:11], a[134:135], a[22:23], v[8:11]// 00000000DAC4: D3F30008 1C222D86
	v_fma_f32 v76, v12, v6, v76                                // 00000000DACC: D1CB004C 05320D0C
	v_fma_f32 v77, v13, v6, v77                                // 00000000DAD4: D1CB004D 05360D0D
	v_fma_f32 v78, v14, v6, v78                                // 00000000DADC: D1CB004E 053A0D0E
	v_fma_f32 v79, v15, v6, v79                                // 00000000DAE4: D1CB004F 053E0D0F
	v_mfma_f32_16x16x32_fp8_fp8 v[12:15], a[136:137], a[16:17], 0// 00000000DAEC: D3F3000C 1A022188
	buffer_load_dwordx4 a[52:55], v44, s[24:27], 0 offen offset:1024// 00000000DAF4: E05C1400 8086342C
	v_mfma_f32_16x16x32_fp8_fp8 v[12:15], a[138:139], a[18:19], v[12:15]// 00000000DAFC: D3F3000C 1C32258A
	v_mfma_f32_16x16x32_fp8_fp8 v[12:15], a[140:141], a[20:21], v[12:15]// 00000000DB04: D3F3000C 1C32298C
	v_mfma_f32_16x16x32_fp8_fp8 v[12:15], a[142:143], a[22:23], v[12:15]// 00000000DB0C: D3F3000C 1C322D8E
	v_fma_f32 v84, v8, v4, v84                                 // 00000000DB14: D1CB0054 05520908
	v_fma_f32 v85, v9, v4, v85                                 // 00000000DB1C: D1CB0055 05560909
	v_fma_f32 v86, v10, v4, v86                                // 00000000DB24: D1CB0056 055A090A
	v_fma_f32 v87, v11, v4, v87                                // 00000000DB2C: D1CB0057 055E090B
	v_mul_f32_dpp v6, v26, v36 row_newbcast:3 row_mask:0xf bank_mask:0xf// 00000000DB34: 0A0C48FA FF01531A
	v_mfma_f32_16x16x32_fp8_fp8 v[8:11], a[144:145], a[16:17], 0// 00000000DB3C: D3F30008 1A022190
	buffer_load_dwordx4 a[56:59], v45, s[24:27], 0 offen       // 00000000DB44: E05C1000 8086382D
	v_mfma_f32_16x16x32_fp8_fp8 v[8:11], a[146:147], a[18:19], v[8:11]// 00000000DB4C: D3F30008 1C222592
	v_mfma_f32_16x16x32_fp8_fp8 v[8:11], a[148:149], a[20:21], v[8:11]// 00000000DB54: D3F30008 1C222994
	v_mfma_f32_16x16x32_fp8_fp8 v[8:11], a[150:151], a[22:23], v[8:11]// 00000000DB5C: D3F30008 1C222D96
	v_fma_f32 v92, v12, v4, v92                                // 00000000DB64: D1CB005C 0572090C
	v_fma_f32 v93, v13, v4, v93                                // 00000000DB6C: D1CB005D 0576090D
	v_fma_f32 v94, v14, v4, v94                                // 00000000DB74: D1CB005E 057A090E
	v_fma_f32 v95, v15, v4, v95                                // 00000000DB7C: D1CB005F 057E090F
	v_mfma_f32_16x16x32_fp8_fp8 v[12:15], a[152:153], a[16:17], 0// 00000000DB84: D3F3000C 1A022198
	buffer_load_dwordx4 a[60:63], v45, s[24:27], 0 offen offset:1024// 00000000DB8C: E05C1400 80863C2D
	v_mfma_f32_16x16x32_fp8_fp8 v[12:15], a[154:155], a[18:19], v[12:15]// 00000000DB94: D3F3000C 1C32259A
	v_mfma_f32_16x16x32_fp8_fp8 v[12:15], a[156:157], a[20:21], v[12:15]// 00000000DB9C: D3F3000C 1C32299C
	v_mfma_f32_16x16x32_fp8_fp8 v[12:15], a[158:159], a[22:23], v[12:15]// 00000000DBA4: D3F3000C 1C322D9E
	v_fma_f32 v100, v8, v6, v100                               // 00000000DBAC: D1CB0064 05920D08
	v_fma_f32 v101, v9, v6, v101                               // 00000000DBB4: D1CB0065 05960D09
	v_fma_f32 v102, v10, v6, v102                              // 00000000DBBC: D1CB0066 059A0D0A
	v_fma_f32 v103, v11, v6, v103                              // 00000000DBC4: D1CB0067 059E0D0B
	v_mul_f32_dpp v4, v26, v37 row_newbcast:0 row_mask:0xf bank_mask:0xf// 00000000DBCC: 0A084AFA FF01501A
	v_mfma_f32_16x16x32_fp8_fp8 v[8:11], a[96:97], a[24:25], 0 // 00000000DBD4: D3F30008 1A023160
	buffer_load_dwordx4 a[64:67], v46, s[24:27], 0 offen       // 00000000DBDC: E05C1000 8086402E
	v_mfma_f32_16x16x32_fp8_fp8 v[8:11], a[98:99], a[26:27], v[8:11]// 00000000DBE4: D3F30008 1C223562
	v_mfma_f32_16x16x32_fp8_fp8 v[8:11], a[100:101], a[28:29], v[8:11]// 00000000DBEC: D3F30008 1C223964
	v_mfma_f32_16x16x32_fp8_fp8 v[8:11], a[102:103], a[30:31], v[8:11]// 00000000DBF4: D3F30008 1C223D66
	v_fma_f32 v108, v12, v6, v108                              // 00000000DBFC: D1CB006C 05B20D0C
	v_fma_f32 v109, v13, v6, v109                              // 00000000DC04: D1CB006D 05B60D0D
	v_fma_f32 v110, v14, v6, v110                              // 00000000DC0C: D1CB006E 05BA0D0E
	v_fma_f32 v111, v15, v6, v111                              // 00000000DC14: D1CB006F 05BE0D0F
	v_mfma_f32_16x16x32_fp8_fp8 v[12:15], a[104:105], a[24:25], 0// 00000000DC1C: D3F3000C 1A023168
	buffer_load_dwordx4 a[68:71], v46, s[24:27], 0 offen offset:1024// 00000000DC24: E05C1400 8086442E
	v_mfma_f32_16x16x32_fp8_fp8 v[12:15], a[106:107], a[26:27], v[12:15]// 00000000DC2C: D3F3000C 1C32356A
	v_mfma_f32_16x16x32_fp8_fp8 v[12:15], a[108:109], a[28:29], v[12:15]// 00000000DC34: D3F3000C 1C32396C
	v_mfma_f32_16x16x32_fp8_fp8 v[12:15], a[110:111], a[30:31], v[12:15]// 00000000DC3C: D3F3000C 1C323D6E
	v_fma_f32 v56, v8, v4, v56                                 // 00000000DC44: D1CB0038 04E20908
	v_fma_f32 v57, v9, v4, v57                                 // 00000000DC4C: D1CB0039 04E60909
	v_fma_f32 v58, v10, v4, v58                                // 00000000DC54: D1CB003A 04EA090A
	v_fma_f32 v59, v11, v4, v59                                // 00000000DC5C: D1CB003B 04EE090B
	v_mul_f32_dpp v6, v26, v37 row_newbcast:1 row_mask:0xf bank_mask:0xf// 00000000DC64: 0A0C4AFA FF01511A
	v_mfma_f32_16x16x32_fp8_fp8 v[8:11], a[112:113], a[24:25], 0// 00000000DC6C: D3F30008 1A023170
	buffer_load_dwordx4 a[72:75], v47, s[24:27], 0 offen       // 00000000DC74: E05C1000 8086482F
	v_mfma_f32_16x16x32_fp8_fp8 v[8:11], a[114:115], a[26:27], v[8:11]// 00000000DC7C: D3F30008 1C223572
	v_mfma_f32_16x16x32_fp8_fp8 v[8:11], a[116:117], a[28:29], v[8:11]// 00000000DC84: D3F30008 1C223974
	v_mfma_f32_16x16x32_fp8_fp8 v[8:11], a[118:119], a[30:31], v[8:11]// 00000000DC8C: D3F30008 1C223D76
	v_fma_f32 v64, v12, v4, v64                                // 00000000DC94: D1CB0040 0502090C
	v_fma_f32 v65, v13, v4, v65                                // 00000000DC9C: D1CB0041 0506090D
	v_fma_f32 v66, v14, v4, v66                                // 00000000DCA4: D1CB0042 050A090E
	v_fma_f32 v67, v15, v4, v67                                // 00000000DCAC: D1CB0043 050E090F
	v_mfma_f32_16x16x32_fp8_fp8 v[12:15], a[120:121], a[24:25], 0// 00000000DCB4: D3F3000C 1A023178
	buffer_load_dwordx4 a[76:79], v47, s[24:27], 0 offen offset:1024// 00000000DCBC: E05C1400 80864C2F
	v_mfma_f32_16x16x32_fp8_fp8 v[12:15], a[122:123], a[26:27], v[12:15]// 00000000DCC4: D3F3000C 1C32357A
	v_mfma_f32_16x16x32_fp8_fp8 v[12:15], a[124:125], a[28:29], v[12:15]// 00000000DCCC: D3F3000C 1C32397C
	v_mfma_f32_16x16x32_fp8_fp8 v[12:15], a[126:127], a[30:31], v[12:15]// 00000000DCD4: D3F3000C 1C323D7E
	v_fma_f32 v72, v8, v6, v72                                 // 00000000DCDC: D1CB0048 05220D08
	v_fma_f32 v73, v9, v6, v73                                 // 00000000DCE4: D1CB0049 05260D09
	v_fma_f32 v74, v10, v6, v74                                // 00000000DCEC: D1CB004A 052A0D0A
	v_fma_f32 v75, v11, v6, v75                                // 00000000DCF4: D1CB004B 052E0D0B
	v_mul_f32_dpp v4, v26, v37 row_newbcast:2 row_mask:0xf bank_mask:0xf// 00000000DCFC: 0A084AFA FF01521A
	v_mfma_f32_16x16x32_fp8_fp8 v[8:11], a[128:129], a[24:25], 0// 00000000DD04: D3F30008 1A023180
	buffer_load_dwordx4 a[80:83], v48, s[24:27], 0 offen       // 00000000DD0C: E05C1000 80865030
	v_mfma_f32_16x16x32_fp8_fp8 v[8:11], a[130:131], a[26:27], v[8:11]// 00000000DD14: D3F30008 1C223582
	v_mfma_f32_16x16x32_fp8_fp8 v[8:11], a[132:133], a[28:29], v[8:11]// 00000000DD1C: D3F30008 1C223984
	v_mfma_f32_16x16x32_fp8_fp8 v[8:11], a[134:135], a[30:31], v[8:11]// 00000000DD24: D3F30008 1C223D86
	v_fma_f32 v80, v12, v6, v80                                // 00000000DD2C: D1CB0050 05420D0C
	v_fma_f32 v81, v13, v6, v81                                // 00000000DD34: D1CB0051 05460D0D
	v_fma_f32 v82, v14, v6, v82                                // 00000000DD3C: D1CB0052 054A0D0E
	v_fma_f32 v83, v15, v6, v83                                // 00000000DD44: D1CB0053 054E0D0F
	v_mfma_f32_16x16x32_fp8_fp8 v[12:15], a[136:137], a[24:25], 0// 00000000DD4C: D3F3000C 1A023188
	buffer_load_dwordx4 a[84:87], v48, s[24:27], 0 offen offset:1024// 00000000DD54: E05C1400 80865430
	v_mfma_f32_16x16x32_fp8_fp8 v[12:15], a[138:139], a[26:27], v[12:15]// 00000000DD5C: D3F3000C 1C32358A
	v_mfma_f32_16x16x32_fp8_fp8 v[12:15], a[140:141], a[28:29], v[12:15]// 00000000DD64: D3F3000C 1C32398C
	v_mfma_f32_16x16x32_fp8_fp8 v[12:15], a[142:143], a[30:31], v[12:15]// 00000000DD6C: D3F3000C 1C323D8E
	v_fma_f32 v88, v8, v4, v88                                 // 00000000DD74: D1CB0058 05620908
	v_fma_f32 v89, v9, v4, v89                                 // 00000000DD7C: D1CB0059 05660909
	v_fma_f32 v90, v10, v4, v90                                // 00000000DD84: D1CB005A 056A090A
	v_fma_f32 v91, v11, v4, v91                                // 00000000DD8C: D1CB005B 056E090B
	v_mul_f32_dpp v6, v26, v37 row_newbcast:3 row_mask:0xf bank_mask:0xf// 00000000DD94: 0A0C4AFA FF01531A
	v_mfma_f32_16x16x32_fp8_fp8 v[8:11], a[144:145], a[24:25], 0// 00000000DD9C: D3F30008 1A023190
	buffer_load_dwordx4 a[88:91], v49, s[24:27], 0 offen       // 00000000DDA4: E05C1000 80865831
	v_mfma_f32_16x16x32_fp8_fp8 v[8:11], a[146:147], a[26:27], v[8:11]// 00000000DDAC: D3F30008 1C223592
	v_mfma_f32_16x16x32_fp8_fp8 v[8:11], a[148:149], a[28:29], v[8:11]// 00000000DDB4: D3F30008 1C223994
	v_mfma_f32_16x16x32_fp8_fp8 v[8:11], a[150:151], a[30:31], v[8:11]// 00000000DDBC: D3F30008 1C223D96
	v_fma_f32 v96, v12, v4, v96                                // 00000000DDC4: D1CB0060 0582090C
	v_fma_f32 v97, v13, v4, v97                                // 00000000DDCC: D1CB0061 0586090D
	v_fma_f32 v98, v14, v4, v98                                // 00000000DDD4: D1CB0062 058A090E
	v_fma_f32 v99, v15, v4, v99                                // 00000000DDDC: D1CB0063 058E090F
	v_mfma_f32_16x16x32_fp8_fp8 v[12:15], a[152:153], a[24:25], 0// 00000000DDE4: D3F3000C 1A023198
	buffer_load_dwordx4 a[92:95], v49, s[24:27], 0 offen offset:1024// 00000000DDEC: E05C1400 80865C31
	buffer_load_dword v38, s[20:23], 0 offen lds               // 00000000DDF4: E0511000 80050026
	s_add_u32 m0, 0x100, s49                                   // 00000000DDFC: 807C31FF 00000100
	v_mfma_f32_16x16x32_fp8_fp8 v[12:15], a[154:155], a[26:27], v[12:15]// 00000000DE04: D3F3000C 1C32359A
	v_mfma_f32_16x16x32_fp8_fp8 v[12:15], a[156:157], a[28:29], v[12:15]// 00000000DE0C: D3F3000C 1C32399C
	buffer_load_dword v39, s[20:23], 0 offen lds               // 00000000DE14: E0511000 80050027
	s_add_u32 m0, 0x200, s49                                   // 00000000DE1C: 807C31FF 00000200
	v_mfma_f32_16x16x32_fp8_fp8 v[12:15], a[158:159], a[30:31], v[12:15]// 00000000DE24: D3F3000C 1C323D9E
	v_fma_f32 v104, v8, v6, v104                               // 00000000DE2C: D1CB0068 05A20D08
	v_fma_f32 v105, v9, v6, v105                               // 00000000DE34: D1CB0069 05A60D09
	v_fma_f32 v106, v10, v6, v106                              // 00000000DE3C: D1CB006A 05AA0D0A
	v_fma_f32 v107, v11, v6, v107                              // 00000000DE44: D1CB006B 05AE0D0B
	v_fma_f32 v112, v12, v6, v112                              // 00000000DE4C: D1CB0070 05C20D0C
	v_fma_f32 v113, v13, v6, v113                              // 00000000DE54: D1CB0071 05C60D0D
	v_fma_f32 v114, v14, v6, v114                              // 00000000DE5C: D1CB0072 05CA0D0E
	v_fma_f32 v115, v15, v6, v115                              // 00000000DE64: D1CB0073 05CE0D0F
	buffer_load_dword v40, s[20:23], 0 offen lds               // 00000000DE6C: E0511000 80050028
	s_add_u32 m0, 0x300, s49                                   // 00000000DE74: 807C31FF 00000300
	buffer_load_dword v41, s[20:23], 0 offen lds               // 00000000DE7C: E0511000 80050029
	s_add_u32 m0, 0, s50                                       // 00000000DE84: 807C3280
	buffer_load_dword v34, v30, s[28:31], 0 offen              // 00000000DE88: E0501000 8007221E
	buffer_load_dword v35, v31, s[28:31], 0 offen              // 00000000DE90: E0501000 8007231F
	s_waitcnt vmcnt(23)                                        // 00000000DE98: BF8C4F77
	s_barrier                                                  // 00000000DE9C: BF8A0000
	v_mul_f32_dpp v4, v29, v36 row_newbcast:0 row_mask:0xf bank_mask:0xf// 00000000DEA0: 0A0848FA FF01501D
	v_mfma_f32_16x16x32_fp8_fp8 v[8:11], a[160:161], a[16:17], 0// 00000000DEA8: D3F30008 1A0221A0
	buffer_load_dword v27, v23, s[32:35], 0 offen              // 00000000DEB0: E0501000 80081B17
	buffer_load_dwordx4 a[96:99], v42, s[84:87], 0 offen       // 00000000DEB8: E05C1000 8095602A
	v_mfma_f32_16x16x32_fp8_fp8 v[8:11], a[162:163], a[18:19], v[8:11]// 00000000DEC0: D3F30008 1C2225A2
	v_mfma_f32_16x16x32_fp8_fp8 v[8:11], a[164:165], a[20:21], v[8:11]// 00000000DEC8: D3F30008 1C2229A4
	ds_read_b128 a[0:3], v2                                    // 00000000DED0: DBFE0000 00000002
	ds_read_b128 a[4:7], v2 offset:64                          // 00000000DED8: DBFE0040 04000002
	v_mfma_f32_16x16x32_fp8_fp8 v[8:11], a[166:167], a[22:23], v[8:11]// 00000000DEE0: D3F30008 1C222DA6
	v_mfma_f32_16x16x32_fp8_fp8 v[12:15], a[168:169], a[16:17], 0// 00000000DEE8: D3F3000C 1A0221A8
	buffer_load_dwordx4 a[100:103], v42, s[84:87], 0 offen offset:1024// 00000000DEF0: E05C1400 8095642A
	v_mfma_f32_16x16x32_fp8_fp8 v[12:15], a[170:171], a[18:19], v[12:15]// 00000000DEF8: D3F3000C 1C3225AA
	v_mfma_f32_16x16x32_fp8_fp8 v[12:15], a[172:173], a[20:21], v[12:15]// 00000000DF00: D3F3000C 1C3229AC
	ds_read_b128 a[8:11], v2 offset:512                        // 00000000DF08: DBFE0200 08000002
	ds_read_b128 a[12:15], v2 offset:576                       // 00000000DF10: DBFE0240 0C000002
	v_mfma_f32_16x16x32_fp8_fp8 v[12:15], a[174:175], a[22:23], v[12:15]// 00000000DF18: D3F3000C 1C322DAE
	v_fma_f32 v116, v8, v4, v116                               // 00000000DF20: D1CB0074 05D20908
	v_fma_f32 v117, v9, v4, v117                               // 00000000DF28: D1CB0075 05D60909
	v_fma_f32 v118, v10, v4, v118                              // 00000000DF30: D1CB0076 05DA090A
	v_fma_f32 v119, v11, v4, v119                              // 00000000DF38: D1CB0077 05DE090B
	v_mul_f32_dpp v6, v29, v36 row_newbcast:1 row_mask:0xf bank_mask:0xf// 00000000DF40: 0A0C48FA FF01511D
	v_mfma_f32_16x16x32_fp8_fp8 v[8:11], a[176:177], a[16:17], 0// 00000000DF48: D3F30008 1A0221B0
	buffer_load_dwordx4 a[104:107], v43, s[84:87], 0 offen     // 00000000DF50: E05C1000 8095682B
	v_mfma_f32_16x16x32_fp8_fp8 v[8:11], a[178:179], a[18:19], v[8:11]// 00000000DF58: D3F30008 1C2225B2
	v_mfma_f32_16x16x32_fp8_fp8 v[8:11], a[180:181], a[20:21], v[8:11]// 00000000DF60: D3F30008 1C2229B4
	v_mfma_f32_16x16x32_fp8_fp8 v[8:11], a[182:183], a[22:23], v[8:11]// 00000000DF68: D3F30008 1C222DB6
	v_fma_f32 v124, v12, v4, v124                              // 00000000DF70: D1CB007C 05F2090C
	v_fma_f32 v125, v13, v4, v125                              // 00000000DF78: D1CB007D 05F6090D
	v_fma_f32 v126, v14, v4, v126                              // 00000000DF80: D1CB007E 05FA090E
	v_fma_f32 v127, v15, v4, v127                              // 00000000DF88: D1CB007F 05FE090F
	v_mfma_f32_16x16x32_fp8_fp8 v[12:15], a[184:185], a[16:17], 0// 00000000DF90: D3F3000C 1A0221B8
	buffer_load_dwordx4 a[108:111], v43, s[84:87], 0 offen offset:1024// 00000000DF98: E05C1400 80956C2B
	v_mfma_f32_16x16x32_fp8_fp8 v[12:15], a[186:187], a[18:19], v[12:15]// 00000000DFA0: D3F3000C 1C3225BA
	v_mfma_f32_16x16x32_fp8_fp8 v[12:15], a[188:189], a[20:21], v[12:15]// 00000000DFA8: D3F3000C 1C3229BC
	v_mfma_f32_16x16x32_fp8_fp8 v[12:15], a[190:191], a[22:23], v[12:15]// 00000000DFB0: D3F3000C 1C322DBE
	v_fma_f32 v132, v8, v6, v132                               // 00000000DFB8: D1CB0084 06120D08
	v_fma_f32 v133, v9, v6, v133                               // 00000000DFC0: D1CB0085 06160D09
	v_fma_f32 v134, v10, v6, v134                              // 00000000DFC8: D1CB0086 061A0D0A
	v_fma_f32 v135, v11, v6, v135                              // 00000000DFD0: D1CB0087 061E0D0B
	v_mul_f32_dpp v4, v29, v36 row_newbcast:2 row_mask:0xf bank_mask:0xf// 00000000DFD8: 0A0848FA FF01521D
	v_mfma_f32_16x16x32_fp8_fp8 v[8:11], a[192:193], a[16:17], 0// 00000000DFE0: D3F30008 1A0221C0
	buffer_load_dwordx4 a[112:115], v44, s[84:87], 0 offen     // 00000000DFE8: E05C1000 8095702C
	v_mfma_f32_16x16x32_fp8_fp8 v[8:11], a[194:195], a[18:19], v[8:11]// 00000000DFF0: D3F30008 1C2225C2
	v_mfma_f32_16x16x32_fp8_fp8 v[8:11], a[196:197], a[20:21], v[8:11]// 00000000DFF8: D3F30008 1C2229C4
	v_mfma_f32_16x16x32_fp8_fp8 v[8:11], a[198:199], a[22:23], v[8:11]// 00000000E000: D3F30008 1C222DC6
	v_fma_f32 v140, v12, v6, v140                              // 00000000E008: D1CB008C 06320D0C
	v_fma_f32 v141, v13, v6, v141                              // 00000000E010: D1CB008D 06360D0D
	v_fma_f32 v142, v14, v6, v142                              // 00000000E018: D1CB008E 063A0D0E
	v_fma_f32 v143, v15, v6, v143                              // 00000000E020: D1CB008F 063E0D0F
	v_mfma_f32_16x16x32_fp8_fp8 v[12:15], a[200:201], a[16:17], 0// 00000000E028: D3F3000C 1A0221C8
	buffer_load_dwordx4 a[116:119], v44, s[84:87], 0 offen offset:1024// 00000000E030: E05C1400 8095742C
	v_mfma_f32_16x16x32_fp8_fp8 v[12:15], a[202:203], a[18:19], v[12:15]// 00000000E038: D3F3000C 1C3225CA
	v_mfma_f32_16x16x32_fp8_fp8 v[12:15], a[204:205], a[20:21], v[12:15]// 00000000E040: D3F3000C 1C3229CC
	v_mfma_f32_16x16x32_fp8_fp8 v[12:15], a[206:207], a[22:23], v[12:15]// 00000000E048: D3F3000C 1C322DCE
	v_fma_f32 v148, v8, v4, v148                               // 00000000E050: D1CB0094 06520908
	v_fma_f32 v149, v9, v4, v149                               // 00000000E058: D1CB0095 06560909
	v_fma_f32 v150, v10, v4, v150                              // 00000000E060: D1CB0096 065A090A
	v_fma_f32 v151, v11, v4, v151                              // 00000000E068: D1CB0097 065E090B
	v_mul_f32_dpp v6, v29, v36 row_newbcast:3 row_mask:0xf bank_mask:0xf// 00000000E070: 0A0C48FA FF01531D
	v_mfma_f32_16x16x32_fp8_fp8 v[8:11], a[208:209], a[16:17], 0// 00000000E078: D3F30008 1A0221D0
	buffer_load_dwordx4 a[120:123], v45, s[84:87], 0 offen     // 00000000E080: E05C1000 8095782D
	v_mfma_f32_16x16x32_fp8_fp8 v[8:11], a[210:211], a[18:19], v[8:11]// 00000000E088: D3F30008 1C2225D2
	v_mfma_f32_16x16x32_fp8_fp8 v[8:11], a[212:213], a[20:21], v[8:11]// 00000000E090: D3F30008 1C2229D4
	v_mfma_f32_16x16x32_fp8_fp8 v[8:11], a[214:215], a[22:23], v[8:11]// 00000000E098: D3F30008 1C222DD6
	v_fma_f32 v156, v12, v4, v156                              // 00000000E0A0: D1CB009C 0672090C
	v_fma_f32 v157, v13, v4, v157                              // 00000000E0A8: D1CB009D 0676090D
	v_fma_f32 v158, v14, v4, v158                              // 00000000E0B0: D1CB009E 067A090E
	v_fma_f32 v159, v15, v4, v159                              // 00000000E0B8: D1CB009F 067E090F
	v_mfma_f32_16x16x32_fp8_fp8 v[12:15], a[216:217], a[16:17], 0// 00000000E0C0: D3F3000C 1A0221D8
	buffer_load_dwordx4 a[124:127], v45, s[84:87], 0 offen offset:1024// 00000000E0C8: E05C1400 80957C2D
	v_mfma_f32_16x16x32_fp8_fp8 v[12:15], a[218:219], a[18:19], v[12:15]// 00000000E0D0: D3F3000C 1C3225DA
	v_mfma_f32_16x16x32_fp8_fp8 v[12:15], a[220:221], a[20:21], v[12:15]// 00000000E0D8: D3F3000C 1C3229DC
	v_mfma_f32_16x16x32_fp8_fp8 v[12:15], a[222:223], a[22:23], v[12:15]// 00000000E0E0: D3F3000C 1C322DDE
	v_fma_f32 v164, v8, v6, v164                               // 00000000E0E8: D1CB00A4 06920D08
	v_fma_f32 v165, v9, v6, v165                               // 00000000E0F0: D1CB00A5 06960D09
	v_fma_f32 v166, v10, v6, v166                              // 00000000E0F8: D1CB00A6 069A0D0A
	v_fma_f32 v167, v11, v6, v167                              // 00000000E100: D1CB00A7 069E0D0B
	v_mul_f32_dpp v4, v29, v37 row_newbcast:0 row_mask:0xf bank_mask:0xf// 00000000E108: 0A084AFA FF01501D
	v_mfma_f32_16x16x32_fp8_fp8 v[8:11], a[160:161], a[24:25], 0// 00000000E110: D3F30008 1A0231A0
	buffer_load_dwordx4 a[128:131], v46, s[84:87], 0 offen     // 00000000E118: E05C1000 8095802E
	v_mfma_f32_16x16x32_fp8_fp8 v[8:11], a[162:163], a[26:27], v[8:11]// 00000000E120: D3F30008 1C2235A2
	v_mfma_f32_16x16x32_fp8_fp8 v[8:11], a[164:165], a[28:29], v[8:11]// 00000000E128: D3F30008 1C2239A4
	v_mfma_f32_16x16x32_fp8_fp8 v[8:11], a[166:167], a[30:31], v[8:11]// 00000000E130: D3F30008 1C223DA6
	v_fma_f32 v172, v12, v6, v172                              // 00000000E138: D1CB00AC 06B20D0C
	v_fma_f32 v173, v13, v6, v173                              // 00000000E140: D1CB00AD 06B60D0D
	v_fma_f32 v174, v14, v6, v174                              // 00000000E148: D1CB00AE 06BA0D0E
	v_fma_f32 v175, v15, v6, v175                              // 00000000E150: D1CB00AF 06BE0D0F
	v_mfma_f32_16x16x32_fp8_fp8 v[12:15], a[168:169], a[24:25], 0// 00000000E158: D3F3000C 1A0231A8
	buffer_load_dwordx4 a[132:135], v46, s[84:87], 0 offen offset:1024// 00000000E160: E05C1400 8095842E
	v_mfma_f32_16x16x32_fp8_fp8 v[12:15], a[170:171], a[26:27], v[12:15]// 00000000E168: D3F3000C 1C3235AA
	v_mfma_f32_16x16x32_fp8_fp8 v[12:15], a[172:173], a[28:29], v[12:15]// 00000000E170: D3F3000C 1C3239AC
	v_mfma_f32_16x16x32_fp8_fp8 v[12:15], a[174:175], a[30:31], v[12:15]// 00000000E178: D3F3000C 1C323DAE
	v_fma_f32 v120, v8, v4, v120                               // 00000000E180: D1CB0078 05E20908
	v_fma_f32 v121, v9, v4, v121                               // 00000000E188: D1CB0079 05E60909
	v_fma_f32 v122, v10, v4, v122                              // 00000000E190: D1CB007A 05EA090A
	v_fma_f32 v123, v11, v4, v123                              // 00000000E198: D1CB007B 05EE090B
	v_mul_f32_dpp v6, v29, v37 row_newbcast:1 row_mask:0xf bank_mask:0xf// 00000000E1A0: 0A0C4AFA FF01511D
	v_mfma_f32_16x16x32_fp8_fp8 v[8:11], a[176:177], a[24:25], 0// 00000000E1A8: D3F30008 1A0231B0
	buffer_load_dwordx4 a[136:139], v47, s[84:87], 0 offen     // 00000000E1B0: E05C1000 8095882F
	v_mfma_f32_16x16x32_fp8_fp8 v[8:11], a[178:179], a[26:27], v[8:11]// 00000000E1B8: D3F30008 1C2235B2
	v_mfma_f32_16x16x32_fp8_fp8 v[8:11], a[180:181], a[28:29], v[8:11]// 00000000E1C0: D3F30008 1C2239B4
	v_mfma_f32_16x16x32_fp8_fp8 v[8:11], a[182:183], a[30:31], v[8:11]// 00000000E1C8: D3F30008 1C223DB6
	v_fma_f32 v128, v12, v4, v128                              // 00000000E1D0: D1CB0080 0602090C
	v_fma_f32 v129, v13, v4, v129                              // 00000000E1D8: D1CB0081 0606090D
	v_fma_f32 v130, v14, v4, v130                              // 00000000E1E0: D1CB0082 060A090E
	v_fma_f32 v131, v15, v4, v131                              // 00000000E1E8: D1CB0083 060E090F
	v_mfma_f32_16x16x32_fp8_fp8 v[12:15], a[184:185], a[24:25], 0// 00000000E1F0: D3F3000C 1A0231B8
	buffer_load_dwordx4 a[140:143], v47, s[84:87], 0 offen offset:1024// 00000000E1F8: E05C1400 80958C2F
	v_mfma_f32_16x16x32_fp8_fp8 v[12:15], a[186:187], a[26:27], v[12:15]// 00000000E200: D3F3000C 1C3235BA
	v_mfma_f32_16x16x32_fp8_fp8 v[12:15], a[188:189], a[28:29], v[12:15]// 00000000E208: D3F3000C 1C3239BC
	v_mfma_f32_16x16x32_fp8_fp8 v[12:15], a[190:191], a[30:31], v[12:15]// 00000000E210: D3F3000C 1C323DBE
	v_fma_f32 v136, v8, v6, v136                               // 00000000E218: D1CB0088 06220D08
	v_fma_f32 v137, v9, v6, v137                               // 00000000E220: D1CB0089 06260D09
	v_fma_f32 v138, v10, v6, v138                              // 00000000E228: D1CB008A 062A0D0A
	v_fma_f32 v139, v11, v6, v139                              // 00000000E230: D1CB008B 062E0D0B
	v_mul_f32_dpp v4, v29, v37 row_newbcast:2 row_mask:0xf bank_mask:0xf// 00000000E238: 0A084AFA FF01521D
	v_mfma_f32_16x16x32_fp8_fp8 v[8:11], a[192:193], a[24:25], 0// 00000000E240: D3F30008 1A0231C0
	buffer_load_dwordx4 a[144:147], v48, s[84:87], 0 offen     // 00000000E248: E05C1000 80959030
	v_mfma_f32_16x16x32_fp8_fp8 v[8:11], a[194:195], a[26:27], v[8:11]// 00000000E250: D3F30008 1C2235C2
	v_mfma_f32_16x16x32_fp8_fp8 v[8:11], a[196:197], a[28:29], v[8:11]// 00000000E258: D3F30008 1C2239C4
	v_mfma_f32_16x16x32_fp8_fp8 v[8:11], a[198:199], a[30:31], v[8:11]// 00000000E260: D3F30008 1C223DC6
	v_fma_f32 v144, v12, v6, v144                              // 00000000E268: D1CB0090 06420D0C
	v_fma_f32 v145, v13, v6, v145                              // 00000000E270: D1CB0091 06460D0D
	v_fma_f32 v146, v14, v6, v146                              // 00000000E278: D1CB0092 064A0D0E
	v_fma_f32 v147, v15, v6, v147                              // 00000000E280: D1CB0093 064E0D0F
	v_mfma_f32_16x16x32_fp8_fp8 v[12:15], a[200:201], a[24:25], 0// 00000000E288: D3F3000C 1A0231C8
	buffer_load_dwordx4 a[148:151], v48, s[84:87], 0 offen offset:1024// 00000000E290: E05C1400 80959430
	v_mfma_f32_16x16x32_fp8_fp8 v[12:15], a[202:203], a[26:27], v[12:15]// 00000000E298: D3F3000C 1C3235CA
	v_mfma_f32_16x16x32_fp8_fp8 v[12:15], a[204:205], a[28:29], v[12:15]// 00000000E2A0: D3F3000C 1C3239CC
	v_mfma_f32_16x16x32_fp8_fp8 v[12:15], a[206:207], a[30:31], v[12:15]// 00000000E2A8: D3F3000C 1C323DCE
	v_fma_f32 v152, v8, v4, v152                               // 00000000E2B0: D1CB0098 06620908
	v_fma_f32 v153, v9, v4, v153                               // 00000000E2B8: D1CB0099 06660909
	v_fma_f32 v154, v10, v4, v154                              // 00000000E2C0: D1CB009A 066A090A
	v_fma_f32 v155, v11, v4, v155                              // 00000000E2C8: D1CB009B 066E090B
	v_mul_f32_dpp v6, v29, v37 row_newbcast:3 row_mask:0xf bank_mask:0xf// 00000000E2D0: 0A0C4AFA FF01531D
	v_mfma_f32_16x16x32_fp8_fp8 v[8:11], a[208:209], a[24:25], 0// 00000000E2D8: D3F30008 1A0231D0
	buffer_load_dwordx4 a[152:155], v49, s[84:87], 0 offen     // 00000000E2E0: E05C1000 80959831
	s_add_u32 s60, 0x180, s80                                  // 00000000E2E8: 803C50FF 00000180
	s_cmp_lt_u32 s60, s81                                      // 00000000E2F0: BF0A513C
	s_cselect_b32 s57, s57, 0                                  // 00000000E2F4: 85398039
	s_cselect_b32 s3, s3, 0                                    // 00000000E2F8: 85038003
	v_mfma_f32_16x16x32_fp8_fp8 v[8:11], a[210:211], a[26:27], v[8:11]// 00000000E2FC: D3F30008 1C2235D2
	s_add_u32 s60, 0x100, s80                                  // 00000000E304: 803C50FF 00000100
	s_cmp_lt_u32 s60, s81                                      // 00000000E30C: BF0A513C
	s_cselect_b32 s58, s58, 0                                  // 00000000E310: 853A803A
	v_mfma_f32_16x16x32_fp8_fp8 v[8:11], a[212:213], a[28:29], v[8:11]// 00000000E314: D3F30008 1C2239D4
	s_add_u32 s60, 0x100, s80                                  // 00000000E31C: 803C50FF 00000100
	s_cmp_lt_u32 s60, s81                                      // 00000000E324: BF0A513C
	s_cselect_b32 s83, s83, 0                                  // 00000000E328: 85538053
	s_cselect_b32 s4, s4, 0                                    // 00000000E32C: 85048004
	v_mfma_f32_16x16x32_fp8_fp8 v[8:11], a[214:215], a[30:31], v[8:11]// 00000000E330: D3F30008 1C223DD6
	s_add_u32 s24, s58, s24                                    // 00000000E338: 8018183A
	s_addc_u32 s25, 0, s25                                     // 00000000E33C: 82191980
	v_fma_f32 v160, v12, v4, v160                              // 00000000E340: D1CB00A0 0682090C
	v_fma_f32 v161, v13, v4, v161                              // 00000000E348: D1CB00A1 0686090D
	v_fma_f32 v162, v14, v4, v162                              // 00000000E350: D1CB00A2 068A090E
	v_fma_f32 v163, v15, v4, v163                              // 00000000E358: D1CB00A3 068E090F
	v_mfma_f32_16x16x32_fp8_fp8 v[12:15], a[216:217], a[24:25], 0// 00000000E360: D3F3000C 1A0231D8
	buffer_load_dwordx4 a[156:159], v49, s[84:87], 0 offen offset:1024// 00000000E368: E05C1400 80959C31
	s_add_u32 s20, s57, s20                                    // 00000000E370: 80141439
	s_addc_u32 s21, 0, s21                                     // 00000000E374: 82151580
	s_add_u32 s28, s3, s28                                     // 00000000E378: 801C1C03
	s_addc_u32 s29, 0, s29                                     // 00000000E37C: 821D1D80
	v_mfma_f32_16x16x32_fp8_fp8 v[12:15], a[218:219], a[26:27], v[12:15]// 00000000E380: D3F3000C 1C3235DA
	s_add_u32 s84, s83, s84                                    // 00000000E388: 80545453
	s_addc_u32 s85, 0, s85                                     // 00000000E38C: 82555580
	v_mfma_f32_16x16x32_fp8_fp8 v[12:15], a[220:221], a[28:29], v[12:15]// 00000000E390: D3F3000C 1C3239DC
	s_add_u32 s32, s4, s32                                     // 00000000E398: 80202004
	s_addc_u32 s33, 0, s33                                     // 00000000E39C: 82212180
	v_mfma_f32_16x16x32_fp8_fp8 v[12:15], a[222:223], a[30:31], v[12:15]// 00000000E3A0: D3F3000C 1C323DDE
	v_fma_f32 v168, v8, v6, v168                               // 00000000E3A8: D1CB00A8 06A20D08
	v_fma_f32 v169, v9, v6, v169                               // 00000000E3B0: D1CB00A9 06A60D09
	v_fma_f32 v170, v10, v6, v170                              // 00000000E3B8: D1CB00AA 06AA0D0A
	v_fma_f32 v171, v11, v6, v171                              // 00000000E3C0: D1CB00AB 06AE0D0B
	v_fma_f32 v176, v12, v6, v176                              // 00000000E3C8: D1CB00B0 06C20D0C
	v_fma_f32 v177, v13, v6, v177                              // 00000000E3D0: D1CB00B1 06C60D0D
	v_fma_f32 v178, v14, v6, v178                              // 00000000E3D8: D1CB00B2 06CA0D0E
	v_fma_f32 v179, v15, v6, v179                              // 00000000E3E0: D1CB00B3 06CE0D0F
	s_addk_i32 s80, 0x80                                       // 00000000E3E8: B7500080
	s_cmp_lt_i32 s80, s81                                      // 00000000E3EC: BF045150
	s_cbranch_scc0 label_2E81                                  // 00000000E3F0: BF840001
	s_branch label_1ED2                                        // 00000000E3F4: BF82F051

000000000000e3f8 <label_2E81>:
	s_cmp_eq_u32 s88, 0                                        // 00000000E3F8: BF068058
	s_cbranch_scc0 label_3726                                  // 00000000E3FC: BF8408A3
	s_cmp_eq_u32 s89, 0                                        // 00000000E400: BF068059
	s_cbranch_scc1 label_310A                                  // 00000000E404: BF850285
	v_mov_b32_e32 v8, v1                                       // 00000000E408: 7E100301
	v_mov_b32_e32 v9, v1                                       // 00000000E40C: 7E120301
	s_mov_b32 s60, s6                                          // 00000000E410: BEBC0006
	s_mov_b32 s61, s6                                          // 00000000E414: BEBD0006
	v_pk_mul_f32 v[4:5], v[52:53], v[52:53]                    // 00000000E418: D3B14004 18026934
	v_pk_mul_f32 v[6:7], v[54:55], v[54:55]                    // 00000000E420: D3B14006 18026D36
	v_pk_fma_f32 v[4:5], v[4:5], s[78:79], v[8:9]              // 00000000E428: D3B04004 1C209D04
	v_pk_fma_f32 v[6:7], v[6:7], s[78:79], v[8:9]              // 00000000E430: D3B04006 1C209D06
	v_pk_mul_f32 v[4:5], v[4:5], v[52:53]                      // 00000000E438: D3B14004 18026904
	v_pk_mul_f32 v[6:7], v[6:7], v[54:55]                      // 00000000E440: D3B14006 18026D06
	v_pk_mul_f32 v[4:5], v[4:5], s[60:61]                      // 00000000E448: D3B14004 18007904
	v_pk_mul_f32 v[6:7], v[6:7], s[60:61]                      // 00000000E450: D3B14006 18007906
	v_exp_f32_e32 v4, v4                                       // 00000000E458: 7E084104
	v_exp_f32_e32 v5, v5                                       // 00000000E45C: 7E0A4105
	v_exp_f32_e32 v6, v6                                       // 00000000E460: 7E0C4106
	v_exp_f32_e32 v7, v7                                       // 00000000E464: 7E0E4107
	v_add_f32_e64 v4, v4, 1.0                                  // 00000000E468: D1010004 0001E504
	v_add_f32_e64 v5, v5, 1.0                                  // 00000000E470: D1010005 0001E505
	v_add_f32_e64 v6, v6, 1.0                                  // 00000000E478: D1010006 0001E506
	v_add_f32_e64 v7, v7, 1.0                                  // 00000000E480: D1010007 0001E507
	v_rcp_f32_e32 v4, v4                                       // 00000000E488: 7E084504
	v_rcp_f32_e32 v5, v5                                       // 00000000E48C: 7E0A4505
	v_rcp_f32_e32 v6, v6                                       // 00000000E490: 7E0C4506
	v_rcp_f32_e32 v7, v7                                       // 00000000E494: 7E0E4507
	v_mul_f32_e32 v52, v52, v4                                 // 00000000E498: 0A680934
	v_mul_f32_e32 v53, v53, v5                                 // 00000000E49C: 0A6A0B35
	v_mul_f32_e32 v54, v54, v6                                 // 00000000E4A0: 0A6C0D36
	v_mul_f32_e32 v55, v55, v7                                 // 00000000E4A4: 0A6E0F37
	v_mul_f32_e32 v52, v52, v116                               // 00000000E4A8: 0A68E934
	v_mul_f32_e32 v53, v53, v117                               // 00000000E4AC: 0A6AEB35
	v_mul_f32_e32 v54, v54, v118                               // 00000000E4B0: 0A6CED36
	v_mul_f32_e32 v55, v55, v119                               // 00000000E4B4: 0A6EEF37
	v_pk_mul_f32 v[4:5], v[56:57], v[56:57]                    // 00000000E4B8: D3B14004 18027138
	v_pk_mul_f32 v[6:7], v[58:59], v[58:59]                    // 00000000E4C0: D3B14006 1802753A
	v_pk_fma_f32 v[4:5], v[4:5], s[78:79], v[8:9]              // 00000000E4C8: D3B04004 1C209D04
	v_pk_fma_f32 v[6:7], v[6:7], s[78:79], v[8:9]              // 00000000E4D0: D3B04006 1C209D06
	v_pk_mul_f32 v[4:5], v[4:5], v[56:57]                      // 00000000E4D8: D3B14004 18027104
	v_pk_mul_f32 v[6:7], v[6:7], v[58:59]                      // 00000000E4E0: D3B14006 18027506
	v_pk_mul_f32 v[4:5], v[4:5], s[60:61]                      // 00000000E4E8: D3B14004 18007904
	v_pk_mul_f32 v[6:7], v[6:7], s[60:61]                      // 00000000E4F0: D3B14006 18007906
	v_exp_f32_e32 v4, v4                                       // 00000000E4F8: 7E084104
	v_exp_f32_e32 v5, v5                                       // 00000000E4FC: 7E0A4105
	v_exp_f32_e32 v6, v6                                       // 00000000E500: 7E0C4106
	v_exp_f32_e32 v7, v7                                       // 00000000E504: 7E0E4107
	v_add_f32_e64 v4, v4, 1.0                                  // 00000000E508: D1010004 0001E504
	v_add_f32_e64 v5, v5, 1.0                                  // 00000000E510: D1010005 0001E505
	v_add_f32_e64 v6, v6, 1.0                                  // 00000000E518: D1010006 0001E506
	v_add_f32_e64 v7, v7, 1.0                                  // 00000000E520: D1010007 0001E507
	v_rcp_f32_e32 v4, v4                                       // 00000000E528: 7E084504
	v_rcp_f32_e32 v5, v5                                       // 00000000E52C: 7E0A4505
	v_rcp_f32_e32 v6, v6                                       // 00000000E530: 7E0C4506
	v_rcp_f32_e32 v7, v7                                       // 00000000E534: 7E0E4507
	v_mul_f32_e32 v56, v56, v4                                 // 00000000E538: 0A700938
	v_mul_f32_e32 v57, v57, v5                                 // 00000000E53C: 0A720B39
	v_mul_f32_e32 v58, v58, v6                                 // 00000000E540: 0A740D3A
	v_mul_f32_e32 v59, v59, v7                                 // 00000000E544: 0A760F3B
	v_mul_f32_e32 v56, v56, v120                               // 00000000E548: 0A70F138
	v_mul_f32_e32 v57, v57, v121                               // 00000000E54C: 0A72F339
	v_mul_f32_e32 v58, v58, v122                               // 00000000E550: 0A74F53A
	v_mul_f32_e32 v59, v59, v123                               // 00000000E554: 0A76F73B
	v_pk_mul_f32 v[4:5], v[60:61], v[60:61]                    // 00000000E558: D3B14004 1802793C
	v_pk_mul_f32 v[6:7], v[62:63], v[62:63]                    // 00000000E560: D3B14006 18027D3E
	v_pk_fma_f32 v[4:5], v[4:5], s[78:79], v[8:9]              // 00000000E568: D3B04004 1C209D04
	v_pk_fma_f32 v[6:7], v[6:7], s[78:79], v[8:9]              // 00000000E570: D3B04006 1C209D06
	v_pk_mul_f32 v[4:5], v[4:5], v[60:61]                      // 00000000E578: D3B14004 18027904
	v_pk_mul_f32 v[6:7], v[6:7], v[62:63]                      // 00000000E580: D3B14006 18027D06
	v_pk_mul_f32 v[4:5], v[4:5], s[60:61]                      // 00000000E588: D3B14004 18007904
	v_pk_mul_f32 v[6:7], v[6:7], s[60:61]                      // 00000000E590: D3B14006 18007906
	v_exp_f32_e32 v4, v4                                       // 00000000E598: 7E084104
	v_exp_f32_e32 v5, v5                                       // 00000000E59C: 7E0A4105
	v_exp_f32_e32 v6, v6                                       // 00000000E5A0: 7E0C4106
	v_exp_f32_e32 v7, v7                                       // 00000000E5A4: 7E0E4107
	v_add_f32_e64 v4, v4, 1.0                                  // 00000000E5A8: D1010004 0001E504
	v_add_f32_e64 v5, v5, 1.0                                  // 00000000E5B0: D1010005 0001E505
	v_add_f32_e64 v6, v6, 1.0                                  // 00000000E5B8: D1010006 0001E506
	v_add_f32_e64 v7, v7, 1.0                                  // 00000000E5C0: D1010007 0001E507
	v_rcp_f32_e32 v4, v4                                       // 00000000E5C8: 7E084504
	v_rcp_f32_e32 v5, v5                                       // 00000000E5CC: 7E0A4505
	v_rcp_f32_e32 v6, v6                                       // 00000000E5D0: 7E0C4506
	v_rcp_f32_e32 v7, v7                                       // 00000000E5D4: 7E0E4507
	v_mul_f32_e32 v60, v60, v4                                 // 00000000E5D8: 0A78093C
	v_mul_f32_e32 v61, v61, v5                                 // 00000000E5DC: 0A7A0B3D
	v_mul_f32_e32 v62, v62, v6                                 // 00000000E5E0: 0A7C0D3E
	v_mul_f32_e32 v63, v63, v7                                 // 00000000E5E4: 0A7E0F3F
	v_mul_f32_e32 v60, v60, v124                               // 00000000E5E8: 0A78F93C
	v_mul_f32_e32 v61, v61, v125                               // 00000000E5EC: 0A7AFB3D
	v_mul_f32_e32 v62, v62, v126                               // 00000000E5F0: 0A7CFD3E
	v_mul_f32_e32 v63, v63, v127                               // 00000000E5F4: 0A7EFF3F
	v_pk_mul_f32 v[4:5], v[64:65], v[64:65]                    // 00000000E5F8: D3B14004 18028140
	v_pk_mul_f32 v[6:7], v[66:67], v[66:67]                    // 00000000E600: D3B14006 18028542
	v_pk_fma_f32 v[4:5], v[4:5], s[78:79], v[8:9]              // 00000000E608: D3B04004 1C209D04
	v_pk_fma_f32 v[6:7], v[6:7], s[78:79], v[8:9]              // 00000000E610: D3B04006 1C209D06
	v_pk_mul_f32 v[4:5], v[4:5], v[64:65]                      // 00000000E618: D3B14004 18028104
	v_pk_mul_f32 v[6:7], v[6:7], v[66:67]                      // 00000000E620: D3B14006 18028506
	v_pk_mul_f32 v[4:5], v[4:5], s[60:61]                      // 00000000E628: D3B14004 18007904
	v_pk_mul_f32 v[6:7], v[6:7], s[60:61]                      // 00000000E630: D3B14006 18007906
	v_exp_f32_e32 v4, v4                                       // 00000000E638: 7E084104
	v_exp_f32_e32 v5, v5                                       // 00000000E63C: 7E0A4105
	v_exp_f32_e32 v6, v6                                       // 00000000E640: 7E0C4106
	v_exp_f32_e32 v7, v7                                       // 00000000E644: 7E0E4107
	v_add_f32_e64 v4, v4, 1.0                                  // 00000000E648: D1010004 0001E504
	v_add_f32_e64 v5, v5, 1.0                                  // 00000000E650: D1010005 0001E505
	v_add_f32_e64 v6, v6, 1.0                                  // 00000000E658: D1010006 0001E506
	v_add_f32_e64 v7, v7, 1.0                                  // 00000000E660: D1010007 0001E507
	v_rcp_f32_e32 v4, v4                                       // 00000000E668: 7E084504
	v_rcp_f32_e32 v5, v5                                       // 00000000E66C: 7E0A4505
	v_rcp_f32_e32 v6, v6                                       // 00000000E670: 7E0C4506
	v_rcp_f32_e32 v7, v7                                       // 00000000E674: 7E0E4507
	v_mul_f32_e32 v64, v64, v4                                 // 00000000E678: 0A800940
	v_mul_f32_e32 v65, v65, v5                                 // 00000000E67C: 0A820B41
	v_mul_f32_e32 v66, v66, v6                                 // 00000000E680: 0A840D42
	v_mul_f32_e32 v67, v67, v7                                 // 00000000E684: 0A860F43
	v_mul_f32_e32 v64, v64, v128                               // 00000000E688: 0A810140
	v_mul_f32_e32 v65, v65, v129                               // 00000000E68C: 0A830341
	v_mul_f32_e32 v66, v66, v130                               // 00000000E690: 0A850542
	v_mul_f32_e32 v67, v67, v131                               // 00000000E694: 0A870743
	v_pk_mul_f32 v[4:5], v[68:69], v[68:69]                    // 00000000E698: D3B14004 18028944
	v_pk_mul_f32 v[6:7], v[70:71], v[70:71]                    // 00000000E6A0: D3B14006 18028D46
	v_pk_fma_f32 v[4:5], v[4:5], s[78:79], v[8:9]              // 00000000E6A8: D3B04004 1C209D04
	v_pk_fma_f32 v[6:7], v[6:7], s[78:79], v[8:9]              // 00000000E6B0: D3B04006 1C209D06
	v_pk_mul_f32 v[4:5], v[4:5], v[68:69]                      // 00000000E6B8: D3B14004 18028904
	v_pk_mul_f32 v[6:7], v[6:7], v[70:71]                      // 00000000E6C0: D3B14006 18028D06
	v_pk_mul_f32 v[4:5], v[4:5], s[60:61]                      // 00000000E6C8: D3B14004 18007904
	v_pk_mul_f32 v[6:7], v[6:7], s[60:61]                      // 00000000E6D0: D3B14006 18007906
	v_exp_f32_e32 v4, v4                                       // 00000000E6D8: 7E084104
	v_exp_f32_e32 v5, v5                                       // 00000000E6DC: 7E0A4105
	v_exp_f32_e32 v6, v6                                       // 00000000E6E0: 7E0C4106
	v_exp_f32_e32 v7, v7                                       // 00000000E6E4: 7E0E4107
	v_add_f32_e64 v4, v4, 1.0                                  // 00000000E6E8: D1010004 0001E504
	v_add_f32_e64 v5, v5, 1.0                                  // 00000000E6F0: D1010005 0001E505
	v_add_f32_e64 v6, v6, 1.0                                  // 00000000E6F8: D1010006 0001E506
	v_add_f32_e64 v7, v7, 1.0                                  // 00000000E700: D1010007 0001E507
	v_rcp_f32_e32 v4, v4                                       // 00000000E708: 7E084504
	v_rcp_f32_e32 v5, v5                                       // 00000000E70C: 7E0A4505
	v_rcp_f32_e32 v6, v6                                       // 00000000E710: 7E0C4506
	v_rcp_f32_e32 v7, v7                                       // 00000000E714: 7E0E4507
	v_mul_f32_e32 v68, v68, v4                                 // 00000000E718: 0A880944
	v_mul_f32_e32 v69, v69, v5                                 // 00000000E71C: 0A8A0B45
	v_mul_f32_e32 v70, v70, v6                                 // 00000000E720: 0A8C0D46
	v_mul_f32_e32 v71, v71, v7                                 // 00000000E724: 0A8E0F47
	v_mul_f32_e32 v68, v68, v132                               // 00000000E728: 0A890944
	v_mul_f32_e32 v69, v69, v133                               // 00000000E72C: 0A8B0B45
	v_mul_f32_e32 v70, v70, v134                               // 00000000E730: 0A8D0D46
	v_mul_f32_e32 v71, v71, v135                               // 00000000E734: 0A8F0F47
	v_pk_mul_f32 v[4:5], v[72:73], v[72:73]                    // 00000000E738: D3B14004 18029148
	v_pk_mul_f32 v[6:7], v[74:75], v[74:75]                    // 00000000E740: D3B14006 1802954A
	v_pk_fma_f32 v[4:5], v[4:5], s[78:79], v[8:9]              // 00000000E748: D3B04004 1C209D04
	v_pk_fma_f32 v[6:7], v[6:7], s[78:79], v[8:9]              // 00000000E750: D3B04006 1C209D06
	v_pk_mul_f32 v[4:5], v[4:5], v[72:73]                      // 00000000E758: D3B14004 18029104
	v_pk_mul_f32 v[6:7], v[6:7], v[74:75]                      // 00000000E760: D3B14006 18029506
	v_pk_mul_f32 v[4:5], v[4:5], s[60:61]                      // 00000000E768: D3B14004 18007904
	v_pk_mul_f32 v[6:7], v[6:7], s[60:61]                      // 00000000E770: D3B14006 18007906
	v_exp_f32_e32 v4, v4                                       // 00000000E778: 7E084104
	v_exp_f32_e32 v5, v5                                       // 00000000E77C: 7E0A4105
	v_exp_f32_e32 v6, v6                                       // 00000000E780: 7E0C4106
	v_exp_f32_e32 v7, v7                                       // 00000000E784: 7E0E4107
	v_add_f32_e64 v4, v4, 1.0                                  // 00000000E788: D1010004 0001E504
	v_add_f32_e64 v5, v5, 1.0                                  // 00000000E790: D1010005 0001E505
	v_add_f32_e64 v6, v6, 1.0                                  // 00000000E798: D1010006 0001E506
	v_add_f32_e64 v7, v7, 1.0                                  // 00000000E7A0: D1010007 0001E507
	v_rcp_f32_e32 v4, v4                                       // 00000000E7A8: 7E084504
	v_rcp_f32_e32 v5, v5                                       // 00000000E7AC: 7E0A4505
	v_rcp_f32_e32 v6, v6                                       // 00000000E7B0: 7E0C4506
	v_rcp_f32_e32 v7, v7                                       // 00000000E7B4: 7E0E4507
	v_mul_f32_e32 v72, v72, v4                                 // 00000000E7B8: 0A900948
	v_mul_f32_e32 v73, v73, v5                                 // 00000000E7BC: 0A920B49
	v_mul_f32_e32 v74, v74, v6                                 // 00000000E7C0: 0A940D4A
	v_mul_f32_e32 v75, v75, v7                                 // 00000000E7C4: 0A960F4B
	v_mul_f32_e32 v72, v72, v136                               // 00000000E7C8: 0A911148
	v_mul_f32_e32 v73, v73, v137                               // 00000000E7CC: 0A931349
	v_mul_f32_e32 v74, v74, v138                               // 00000000E7D0: 0A95154A
	v_mul_f32_e32 v75, v75, v139                               // 00000000E7D4: 0A97174B
	v_pk_mul_f32 v[4:5], v[76:77], v[76:77]                    // 00000000E7D8: D3B14004 1802994C
	v_pk_mul_f32 v[6:7], v[78:79], v[78:79]                    // 00000000E7E0: D3B14006 18029D4E
	v_pk_fma_f32 v[4:5], v[4:5], s[78:79], v[8:9]              // 00000000E7E8: D3B04004 1C209D04
	v_pk_fma_f32 v[6:7], v[6:7], s[78:79], v[8:9]              // 00000000E7F0: D3B04006 1C209D06
	v_pk_mul_f32 v[4:5], v[4:5], v[76:77]                      // 00000000E7F8: D3B14004 18029904
	v_pk_mul_f32 v[6:7], v[6:7], v[78:79]                      // 00000000E800: D3B14006 18029D06
	v_pk_mul_f32 v[4:5], v[4:5], s[60:61]                      // 00000000E808: D3B14004 18007904
	v_pk_mul_f32 v[6:7], v[6:7], s[60:61]                      // 00000000E810: D3B14006 18007906
	v_exp_f32_e32 v4, v4                                       // 00000000E818: 7E084104
	v_exp_f32_e32 v5, v5                                       // 00000000E81C: 7E0A4105
	v_exp_f32_e32 v6, v6                                       // 00000000E820: 7E0C4106
	v_exp_f32_e32 v7, v7                                       // 00000000E824: 7E0E4107
	v_add_f32_e64 v4, v4, 1.0                                  // 00000000E828: D1010004 0001E504
	v_add_f32_e64 v5, v5, 1.0                                  // 00000000E830: D1010005 0001E505
	v_add_f32_e64 v6, v6, 1.0                                  // 00000000E838: D1010006 0001E506
	v_add_f32_e64 v7, v7, 1.0                                  // 00000000E840: D1010007 0001E507
	v_rcp_f32_e32 v4, v4                                       // 00000000E848: 7E084504
	v_rcp_f32_e32 v5, v5                                       // 00000000E84C: 7E0A4505
	v_rcp_f32_e32 v6, v6                                       // 00000000E850: 7E0C4506
	v_rcp_f32_e32 v7, v7                                       // 00000000E854: 7E0E4507
	v_mul_f32_e32 v76, v76, v4                                 // 00000000E858: 0A98094C
	v_mul_f32_e32 v77, v77, v5                                 // 00000000E85C: 0A9A0B4D
	v_mul_f32_e32 v78, v78, v6                                 // 00000000E860: 0A9C0D4E
	v_mul_f32_e32 v79, v79, v7                                 // 00000000E864: 0A9E0F4F
	v_mul_f32_e32 v76, v76, v140                               // 00000000E868: 0A99194C
	v_mul_f32_e32 v77, v77, v141                               // 00000000E86C: 0A9B1B4D
	v_mul_f32_e32 v78, v78, v142                               // 00000000E870: 0A9D1D4E
	v_mul_f32_e32 v79, v79, v143                               // 00000000E874: 0A9F1F4F
	v_pk_mul_f32 v[4:5], v[80:81], v[80:81]                    // 00000000E878: D3B14004 1802A150
	v_pk_mul_f32 v[6:7], v[82:83], v[82:83]                    // 00000000E880: D3B14006 1802A552
	v_pk_fma_f32 v[4:5], v[4:5], s[78:79], v[8:9]              // 00000000E888: D3B04004 1C209D04
	v_pk_fma_f32 v[6:7], v[6:7], s[78:79], v[8:9]              // 00000000E890: D3B04006 1C209D06
	v_pk_mul_f32 v[4:5], v[4:5], v[80:81]                      // 00000000E898: D3B14004 1802A104
	v_pk_mul_f32 v[6:7], v[6:7], v[82:83]                      // 00000000E8A0: D3B14006 1802A506
	v_pk_mul_f32 v[4:5], v[4:5], s[60:61]                      // 00000000E8A8: D3B14004 18007904
	v_pk_mul_f32 v[6:7], v[6:7], s[60:61]                      // 00000000E8B0: D3B14006 18007906
	v_exp_f32_e32 v4, v4                                       // 00000000E8B8: 7E084104
	v_exp_f32_e32 v5, v5                                       // 00000000E8BC: 7E0A4105
	v_exp_f32_e32 v6, v6                                       // 00000000E8C0: 7E0C4106
	v_exp_f32_e32 v7, v7                                       // 00000000E8C4: 7E0E4107
	v_add_f32_e64 v4, v4, 1.0                                  // 00000000E8C8: D1010004 0001E504
	v_add_f32_e64 v5, v5, 1.0                                  // 00000000E8D0: D1010005 0001E505
	v_add_f32_e64 v6, v6, 1.0                                  // 00000000E8D8: D1010006 0001E506
	v_add_f32_e64 v7, v7, 1.0                                  // 00000000E8E0: D1010007 0001E507
	v_rcp_f32_e32 v4, v4                                       // 00000000E8E8: 7E084504
	v_rcp_f32_e32 v5, v5                                       // 00000000E8EC: 7E0A4505
	v_rcp_f32_e32 v6, v6                                       // 00000000E8F0: 7E0C4506
	v_rcp_f32_e32 v7, v7                                       // 00000000E8F4: 7E0E4507
	v_mul_f32_e32 v80, v80, v4                                 // 00000000E8F8: 0AA00950
	v_mul_f32_e32 v81, v81, v5                                 // 00000000E8FC: 0AA20B51
	v_mul_f32_e32 v82, v82, v6                                 // 00000000E900: 0AA40D52
	v_mul_f32_e32 v83, v83, v7                                 // 00000000E904: 0AA60F53
	v_mul_f32_e32 v80, v80, v144                               // 00000000E908: 0AA12150
	v_mul_f32_e32 v81, v81, v145                               // 00000000E90C: 0AA32351
	v_mul_f32_e32 v82, v82, v146                               // 00000000E910: 0AA52552
	v_mul_f32_e32 v83, v83, v147                               // 00000000E914: 0AA72753
	v_pk_mul_f32 v[4:5], v[84:85], v[84:85]                    // 00000000E918: D3B14004 1802A954
	v_pk_mul_f32 v[6:7], v[86:87], v[86:87]                    // 00000000E920: D3B14006 1802AD56
	v_pk_fma_f32 v[4:5], v[4:5], s[78:79], v[8:9]              // 00000000E928: D3B04004 1C209D04
	v_pk_fma_f32 v[6:7], v[6:7], s[78:79], v[8:9]              // 00000000E930: D3B04006 1C209D06
	v_pk_mul_f32 v[4:5], v[4:5], v[84:85]                      // 00000000E938: D3B14004 1802A904
	v_pk_mul_f32 v[6:7], v[6:7], v[86:87]                      // 00000000E940: D3B14006 1802AD06
	v_pk_mul_f32 v[4:5], v[4:5], s[60:61]                      // 00000000E948: D3B14004 18007904
	v_pk_mul_f32 v[6:7], v[6:7], s[60:61]                      // 00000000E950: D3B14006 18007906
	v_exp_f32_e32 v4, v4                                       // 00000000E958: 7E084104
	v_exp_f32_e32 v5, v5                                       // 00000000E95C: 7E0A4105
	v_exp_f32_e32 v6, v6                                       // 00000000E960: 7E0C4106
	v_exp_f32_e32 v7, v7                                       // 00000000E964: 7E0E4107
	v_add_f32_e64 v4, v4, 1.0                                  // 00000000E968: D1010004 0001E504
	v_add_f32_e64 v5, v5, 1.0                                  // 00000000E970: D1010005 0001E505
	v_add_f32_e64 v6, v6, 1.0                                  // 00000000E978: D1010006 0001E506
	v_add_f32_e64 v7, v7, 1.0                                  // 00000000E980: D1010007 0001E507
	v_rcp_f32_e32 v4, v4                                       // 00000000E988: 7E084504
	v_rcp_f32_e32 v5, v5                                       // 00000000E98C: 7E0A4505
	v_rcp_f32_e32 v6, v6                                       // 00000000E990: 7E0C4506
	v_rcp_f32_e32 v7, v7                                       // 00000000E994: 7E0E4507
	v_mul_f32_e32 v84, v84, v4                                 // 00000000E998: 0AA80954
	v_mul_f32_e32 v85, v85, v5                                 // 00000000E99C: 0AAA0B55
	v_mul_f32_e32 v86, v86, v6                                 // 00000000E9A0: 0AAC0D56
	v_mul_f32_e32 v87, v87, v7                                 // 00000000E9A4: 0AAE0F57
	v_mul_f32_e32 v84, v84, v148                               // 00000000E9A8: 0AA92954
	v_mul_f32_e32 v85, v85, v149                               // 00000000E9AC: 0AAB2B55
	v_mul_f32_e32 v86, v86, v150                               // 00000000E9B0: 0AAD2D56
	v_mul_f32_e32 v87, v87, v151                               // 00000000E9B4: 0AAF2F57
	v_pk_mul_f32 v[4:5], v[88:89], v[88:89]                    // 00000000E9B8: D3B14004 1802B158
	v_pk_mul_f32 v[6:7], v[90:91], v[90:91]                    // 00000000E9C0: D3B14006 1802B55A
	v_pk_fma_f32 v[4:5], v[4:5], s[78:79], v[8:9]              // 00000000E9C8: D3B04004 1C209D04
	v_pk_fma_f32 v[6:7], v[6:7], s[78:79], v[8:9]              // 00000000E9D0: D3B04006 1C209D06
	v_pk_mul_f32 v[4:5], v[4:5], v[88:89]                      // 00000000E9D8: D3B14004 1802B104
	v_pk_mul_f32 v[6:7], v[6:7], v[90:91]                      // 00000000E9E0: D3B14006 1802B506
	v_pk_mul_f32 v[4:5], v[4:5], s[60:61]                      // 00000000E9E8: D3B14004 18007904
	v_pk_mul_f32 v[6:7], v[6:7], s[60:61]                      // 00000000E9F0: D3B14006 18007906
	v_exp_f32_e32 v4, v4                                       // 00000000E9F8: 7E084104
	v_exp_f32_e32 v5, v5                                       // 00000000E9FC: 7E0A4105
	v_exp_f32_e32 v6, v6                                       // 00000000EA00: 7E0C4106
	v_exp_f32_e32 v7, v7                                       // 00000000EA04: 7E0E4107
	v_add_f32_e64 v4, v4, 1.0                                  // 00000000EA08: D1010004 0001E504
	v_add_f32_e64 v5, v5, 1.0                                  // 00000000EA10: D1010005 0001E505
	v_add_f32_e64 v6, v6, 1.0                                  // 00000000EA18: D1010006 0001E506
	v_add_f32_e64 v7, v7, 1.0                                  // 00000000EA20: D1010007 0001E507
	v_rcp_f32_e32 v4, v4                                       // 00000000EA28: 7E084504
	v_rcp_f32_e32 v5, v5                                       // 00000000EA2C: 7E0A4505
	v_rcp_f32_e32 v6, v6                                       // 00000000EA30: 7E0C4506
	v_rcp_f32_e32 v7, v7                                       // 00000000EA34: 7E0E4507
	v_mul_f32_e32 v88, v88, v4                                 // 00000000EA38: 0AB00958
	v_mul_f32_e32 v89, v89, v5                                 // 00000000EA3C: 0AB20B59
	v_mul_f32_e32 v90, v90, v6                                 // 00000000EA40: 0AB40D5A
	v_mul_f32_e32 v91, v91, v7                                 // 00000000EA44: 0AB60F5B
	v_mul_f32_e32 v88, v88, v152                               // 00000000EA48: 0AB13158
	v_mul_f32_e32 v89, v89, v153                               // 00000000EA4C: 0AB33359
	v_mul_f32_e32 v90, v90, v154                               // 00000000EA50: 0AB5355A
	v_mul_f32_e32 v91, v91, v155                               // 00000000EA54: 0AB7375B
	v_pk_mul_f32 v[4:5], v[92:93], v[92:93]                    // 00000000EA58: D3B14004 1802B95C
	v_pk_mul_f32 v[6:7], v[94:95], v[94:95]                    // 00000000EA60: D3B14006 1802BD5E
	v_pk_fma_f32 v[4:5], v[4:5], s[78:79], v[8:9]              // 00000000EA68: D3B04004 1C209D04
	v_pk_fma_f32 v[6:7], v[6:7], s[78:79], v[8:9]              // 00000000EA70: D3B04006 1C209D06
	v_pk_mul_f32 v[4:5], v[4:5], v[92:93]                      // 00000000EA78: D3B14004 1802B904
	v_pk_mul_f32 v[6:7], v[6:7], v[94:95]                      // 00000000EA80: D3B14006 1802BD06
	v_pk_mul_f32 v[4:5], v[4:5], s[60:61]                      // 00000000EA88: D3B14004 18007904
	v_pk_mul_f32 v[6:7], v[6:7], s[60:61]                      // 00000000EA90: D3B14006 18007906
	v_exp_f32_e32 v4, v4                                       // 00000000EA98: 7E084104
	v_exp_f32_e32 v5, v5                                       // 00000000EA9C: 7E0A4105
	v_exp_f32_e32 v6, v6                                       // 00000000EAA0: 7E0C4106
	v_exp_f32_e32 v7, v7                                       // 00000000EAA4: 7E0E4107
	v_add_f32_e64 v4, v4, 1.0                                  // 00000000EAA8: D1010004 0001E504
	v_add_f32_e64 v5, v5, 1.0                                  // 00000000EAB0: D1010005 0001E505
	v_add_f32_e64 v6, v6, 1.0                                  // 00000000EAB8: D1010006 0001E506
	v_add_f32_e64 v7, v7, 1.0                                  // 00000000EAC0: D1010007 0001E507
	v_rcp_f32_e32 v4, v4                                       // 00000000EAC8: 7E084504
	v_rcp_f32_e32 v5, v5                                       // 00000000EACC: 7E0A4505
	v_rcp_f32_e32 v6, v6                                       // 00000000EAD0: 7E0C4506
	v_rcp_f32_e32 v7, v7                                       // 00000000EAD4: 7E0E4507
	v_mul_f32_e32 v92, v92, v4                                 // 00000000EAD8: 0AB8095C
	v_mul_f32_e32 v93, v93, v5                                 // 00000000EADC: 0ABA0B5D
	v_mul_f32_e32 v94, v94, v6                                 // 00000000EAE0: 0ABC0D5E
	v_mul_f32_e32 v95, v95, v7                                 // 00000000EAE4: 0ABE0F5F
	v_mul_f32_e32 v92, v92, v156                               // 00000000EAE8: 0AB9395C
	v_mul_f32_e32 v93, v93, v157                               // 00000000EAEC: 0ABB3B5D
	v_mul_f32_e32 v94, v94, v158                               // 00000000EAF0: 0ABD3D5E
	v_mul_f32_e32 v95, v95, v159                               // 00000000EAF4: 0ABF3F5F
	v_pk_mul_f32 v[4:5], v[96:97], v[96:97]                    // 00000000EAF8: D3B14004 1802C160
	v_pk_mul_f32 v[6:7], v[98:99], v[98:99]                    // 00000000EB00: D3B14006 1802C562
	v_pk_fma_f32 v[4:5], v[4:5], s[78:79], v[8:9]              // 00000000EB08: D3B04004 1C209D04
	v_pk_fma_f32 v[6:7], v[6:7], s[78:79], v[8:9]              // 00000000EB10: D3B04006 1C209D06
	v_pk_mul_f32 v[4:5], v[4:5], v[96:97]                      // 00000000EB18: D3B14004 1802C104
	v_pk_mul_f32 v[6:7], v[6:7], v[98:99]                      // 00000000EB20: D3B14006 1802C506
	v_pk_mul_f32 v[4:5], v[4:5], s[60:61]                      // 00000000EB28: D3B14004 18007904
	v_pk_mul_f32 v[6:7], v[6:7], s[60:61]                      // 00000000EB30: D3B14006 18007906
	v_exp_f32_e32 v4, v4                                       // 00000000EB38: 7E084104
	v_exp_f32_e32 v5, v5                                       // 00000000EB3C: 7E0A4105
	v_exp_f32_e32 v6, v6                                       // 00000000EB40: 7E0C4106
	v_exp_f32_e32 v7, v7                                       // 00000000EB44: 7E0E4107
	v_add_f32_e64 v4, v4, 1.0                                  // 00000000EB48: D1010004 0001E504
	v_add_f32_e64 v5, v5, 1.0                                  // 00000000EB50: D1010005 0001E505
	v_add_f32_e64 v6, v6, 1.0                                  // 00000000EB58: D1010006 0001E506
	v_add_f32_e64 v7, v7, 1.0                                  // 00000000EB60: D1010007 0001E507
	v_rcp_f32_e32 v4, v4                                       // 00000000EB68: 7E084504
	v_rcp_f32_e32 v5, v5                                       // 00000000EB6C: 7E0A4505
	v_rcp_f32_e32 v6, v6                                       // 00000000EB70: 7E0C4506
	v_rcp_f32_e32 v7, v7                                       // 00000000EB74: 7E0E4507
	v_mul_f32_e32 v96, v96, v4                                 // 00000000EB78: 0AC00960
	v_mul_f32_e32 v97, v97, v5                                 // 00000000EB7C: 0AC20B61
	v_mul_f32_e32 v98, v98, v6                                 // 00000000EB80: 0AC40D62
	v_mul_f32_e32 v99, v99, v7                                 // 00000000EB84: 0AC60F63
	v_mul_f32_e32 v96, v96, v160                               // 00000000EB88: 0AC14160
	v_mul_f32_e32 v97, v97, v161                               // 00000000EB8C: 0AC34361
	v_mul_f32_e32 v98, v98, v162                               // 00000000EB90: 0AC54562
	v_mul_f32_e32 v99, v99, v163                               // 00000000EB94: 0AC74763
	v_pk_mul_f32 v[4:5], v[100:101], v[100:101]                // 00000000EB98: D3B14004 1802C964
	v_pk_mul_f32 v[6:7], v[102:103], v[102:103]                // 00000000EBA0: D3B14006 1802CD66
	v_pk_fma_f32 v[4:5], v[4:5], s[78:79], v[8:9]              // 00000000EBA8: D3B04004 1C209D04
	v_pk_fma_f32 v[6:7], v[6:7], s[78:79], v[8:9]              // 00000000EBB0: D3B04006 1C209D06
	v_pk_mul_f32 v[4:5], v[4:5], v[100:101]                    // 00000000EBB8: D3B14004 1802C904
	v_pk_mul_f32 v[6:7], v[6:7], v[102:103]                    // 00000000EBC0: D3B14006 1802CD06
	v_pk_mul_f32 v[4:5], v[4:5], s[60:61]                      // 00000000EBC8: D3B14004 18007904
	v_pk_mul_f32 v[6:7], v[6:7], s[60:61]                      // 00000000EBD0: D3B14006 18007906
	v_exp_f32_e32 v4, v4                                       // 00000000EBD8: 7E084104
	v_exp_f32_e32 v5, v5                                       // 00000000EBDC: 7E0A4105
	v_exp_f32_e32 v6, v6                                       // 00000000EBE0: 7E0C4106
	v_exp_f32_e32 v7, v7                                       // 00000000EBE4: 7E0E4107
	v_add_f32_e64 v4, v4, 1.0                                  // 00000000EBE8: D1010004 0001E504
	v_add_f32_e64 v5, v5, 1.0                                  // 00000000EBF0: D1010005 0001E505
	v_add_f32_e64 v6, v6, 1.0                                  // 00000000EBF8: D1010006 0001E506
	v_add_f32_e64 v7, v7, 1.0                                  // 00000000EC00: D1010007 0001E507
	v_rcp_f32_e32 v4, v4                                       // 00000000EC08: 7E084504
	v_rcp_f32_e32 v5, v5                                       // 00000000EC0C: 7E0A4505
	v_rcp_f32_e32 v6, v6                                       // 00000000EC10: 7E0C4506
	v_rcp_f32_e32 v7, v7                                       // 00000000EC14: 7E0E4507
	v_mul_f32_e32 v100, v100, v4                               // 00000000EC18: 0AC80964
	v_mul_f32_e32 v101, v101, v5                               // 00000000EC1C: 0ACA0B65
	v_mul_f32_e32 v102, v102, v6                               // 00000000EC20: 0ACC0D66
	v_mul_f32_e32 v103, v103, v7                               // 00000000EC24: 0ACE0F67
	v_mul_f32_e32 v100, v100, v164                             // 00000000EC28: 0AC94964
	v_mul_f32_e32 v101, v101, v165                             // 00000000EC2C: 0ACB4B65
	v_mul_f32_e32 v102, v102, v166                             // 00000000EC30: 0ACD4D66
	v_mul_f32_e32 v103, v103, v167                             // 00000000EC34: 0ACF4F67
	v_pk_mul_f32 v[4:5], v[104:105], v[104:105]                // 00000000EC38: D3B14004 1802D168
	v_pk_mul_f32 v[6:7], v[106:107], v[106:107]                // 00000000EC40: D3B14006 1802D56A
	v_pk_fma_f32 v[4:5], v[4:5], s[78:79], v[8:9]              // 00000000EC48: D3B04004 1C209D04
	v_pk_fma_f32 v[6:7], v[6:7], s[78:79], v[8:9]              // 00000000EC50: D3B04006 1C209D06
	v_pk_mul_f32 v[4:5], v[4:5], v[104:105]                    // 00000000EC58: D3B14004 1802D104
	v_pk_mul_f32 v[6:7], v[6:7], v[106:107]                    // 00000000EC60: D3B14006 1802D506
	v_pk_mul_f32 v[4:5], v[4:5], s[60:61]                      // 00000000EC68: D3B14004 18007904
	v_pk_mul_f32 v[6:7], v[6:7], s[60:61]                      // 00000000EC70: D3B14006 18007906
	v_exp_f32_e32 v4, v4                                       // 00000000EC78: 7E084104
	v_exp_f32_e32 v5, v5                                       // 00000000EC7C: 7E0A4105
	v_exp_f32_e32 v6, v6                                       // 00000000EC80: 7E0C4106
	v_exp_f32_e32 v7, v7                                       // 00000000EC84: 7E0E4107
	v_add_f32_e64 v4, v4, 1.0                                  // 00000000EC88: D1010004 0001E504
	v_add_f32_e64 v5, v5, 1.0                                  // 00000000EC90: D1010005 0001E505
	v_add_f32_e64 v6, v6, 1.0                                  // 00000000EC98: D1010006 0001E506
	v_add_f32_e64 v7, v7, 1.0                                  // 00000000ECA0: D1010007 0001E507
	v_rcp_f32_e32 v4, v4                                       // 00000000ECA8: 7E084504
	v_rcp_f32_e32 v5, v5                                       // 00000000ECAC: 7E0A4505
	v_rcp_f32_e32 v6, v6                                       // 00000000ECB0: 7E0C4506
	v_rcp_f32_e32 v7, v7                                       // 00000000ECB4: 7E0E4507
	v_mul_f32_e32 v104, v104, v4                               // 00000000ECB8: 0AD00968
	v_mul_f32_e32 v105, v105, v5                               // 00000000ECBC: 0AD20B69
	v_mul_f32_e32 v106, v106, v6                               // 00000000ECC0: 0AD40D6A
	v_mul_f32_e32 v107, v107, v7                               // 00000000ECC4: 0AD60F6B
	v_mul_f32_e32 v104, v104, v168                             // 00000000ECC8: 0AD15168
	v_mul_f32_e32 v105, v105, v169                             // 00000000ECCC: 0AD35369
	v_mul_f32_e32 v106, v106, v170                             // 00000000ECD0: 0AD5556A
	v_mul_f32_e32 v107, v107, v171                             // 00000000ECD4: 0AD7576B
	v_pk_mul_f32 v[4:5], v[108:109], v[108:109]                // 00000000ECD8: D3B14004 1802D96C
	v_pk_mul_f32 v[6:7], v[110:111], v[110:111]                // 00000000ECE0: D3B14006 1802DD6E
	v_pk_fma_f32 v[4:5], v[4:5], s[78:79], v[8:9]              // 00000000ECE8: D3B04004 1C209D04
	v_pk_fma_f32 v[6:7], v[6:7], s[78:79], v[8:9]              // 00000000ECF0: D3B04006 1C209D06
	v_pk_mul_f32 v[4:5], v[4:5], v[108:109]                    // 00000000ECF8: D3B14004 1802D904
	v_pk_mul_f32 v[6:7], v[6:7], v[110:111]                    // 00000000ED00: D3B14006 1802DD06
	v_pk_mul_f32 v[4:5], v[4:5], s[60:61]                      // 00000000ED08: D3B14004 18007904
	v_pk_mul_f32 v[6:7], v[6:7], s[60:61]                      // 00000000ED10: D3B14006 18007906
	v_exp_f32_e32 v4, v4                                       // 00000000ED18: 7E084104
	v_exp_f32_e32 v5, v5                                       // 00000000ED1C: 7E0A4105
	v_exp_f32_e32 v6, v6                                       // 00000000ED20: 7E0C4106
	v_exp_f32_e32 v7, v7                                       // 00000000ED24: 7E0E4107
	v_add_f32_e64 v4, v4, 1.0                                  // 00000000ED28: D1010004 0001E504
	v_add_f32_e64 v5, v5, 1.0                                  // 00000000ED30: D1010005 0001E505
	v_add_f32_e64 v6, v6, 1.0                                  // 00000000ED38: D1010006 0001E506
	v_add_f32_e64 v7, v7, 1.0                                  // 00000000ED40: D1010007 0001E507
	v_rcp_f32_e32 v4, v4                                       // 00000000ED48: 7E084504
	v_rcp_f32_e32 v5, v5                                       // 00000000ED4C: 7E0A4505
	v_rcp_f32_e32 v6, v6                                       // 00000000ED50: 7E0C4506
	v_rcp_f32_e32 v7, v7                                       // 00000000ED54: 7E0E4507
	v_mul_f32_e32 v108, v108, v4                               // 00000000ED58: 0AD8096C
	v_mul_f32_e32 v109, v109, v5                               // 00000000ED5C: 0ADA0B6D
	v_mul_f32_e32 v110, v110, v6                               // 00000000ED60: 0ADC0D6E
	v_mul_f32_e32 v111, v111, v7                               // 00000000ED64: 0ADE0F6F
	v_mul_f32_e32 v108, v108, v172                             // 00000000ED68: 0AD9596C
	v_mul_f32_e32 v109, v109, v173                             // 00000000ED6C: 0ADB5B6D
	v_mul_f32_e32 v110, v110, v174                             // 00000000ED70: 0ADD5D6E
	v_mul_f32_e32 v111, v111, v175                             // 00000000ED74: 0ADF5F6F
	v_pk_mul_f32 v[4:5], v[112:113], v[112:113]                // 00000000ED78: D3B14004 1802E170
	v_pk_mul_f32 v[6:7], v[114:115], v[114:115]                // 00000000ED80: D3B14006 1802E572
	v_pk_fma_f32 v[4:5], v[4:5], s[78:79], v[8:9]              // 00000000ED88: D3B04004 1C209D04
	v_pk_fma_f32 v[6:7], v[6:7], s[78:79], v[8:9]              // 00000000ED90: D3B04006 1C209D06
	v_pk_mul_f32 v[4:5], v[4:5], v[112:113]                    // 00000000ED98: D3B14004 1802E104
	v_pk_mul_f32 v[6:7], v[6:7], v[114:115]                    // 00000000EDA0: D3B14006 1802E506
	v_pk_mul_f32 v[4:5], v[4:5], s[60:61]                      // 00000000EDA8: D3B14004 18007904
	v_pk_mul_f32 v[6:7], v[6:7], s[60:61]                      // 00000000EDB0: D3B14006 18007906
	v_exp_f32_e32 v4, v4                                       // 00000000EDB8: 7E084104
	v_exp_f32_e32 v5, v5                                       // 00000000EDBC: 7E0A4105
	v_exp_f32_e32 v6, v6                                       // 00000000EDC0: 7E0C4106
	v_exp_f32_e32 v7, v7                                       // 00000000EDC4: 7E0E4107
	v_add_f32_e64 v4, v4, 1.0                                  // 00000000EDC8: D1010004 0001E504
	v_add_f32_e64 v5, v5, 1.0                                  // 00000000EDD0: D1010005 0001E505
	v_add_f32_e64 v6, v6, 1.0                                  // 00000000EDD8: D1010006 0001E506
	v_add_f32_e64 v7, v7, 1.0                                  // 00000000EDE0: D1010007 0001E507
	v_rcp_f32_e32 v4, v4                                       // 00000000EDE8: 7E084504
	v_rcp_f32_e32 v5, v5                                       // 00000000EDEC: 7E0A4505
	v_rcp_f32_e32 v6, v6                                       // 00000000EDF0: 7E0C4506
	v_rcp_f32_e32 v7, v7                                       // 00000000EDF4: 7E0E4507
	v_mul_f32_e32 v112, v112, v4                               // 00000000EDF8: 0AE00970
	v_mul_f32_e32 v113, v113, v5                               // 00000000EDFC: 0AE20B71
	v_mul_f32_e32 v114, v114, v6                               // 00000000EE00: 0AE40D72
	v_mul_f32_e32 v115, v115, v7                               // 00000000EE04: 0AE60F73
	v_mul_f32_e32 v112, v112, v176                             // 00000000EE08: 0AE16170
	v_mul_f32_e32 v113, v113, v177                             // 00000000EE0C: 0AE36371
	v_mul_f32_e32 v114, v114, v178                             // 00000000EE10: 0AE56572
	v_mul_f32_e32 v115, v115, v179                             // 00000000EE14: 0AE76773
	s_branch label_330A                                        // 00000000EE18: BF820200

000000000000ee1c <label_310A>:
	v_mul_f32_e64 v4, -v52, s6                                 // 00000000EE1C: D1050004 20000D34
	v_mul_f32_e64 v5, -v53, s6                                 // 00000000EE24: D1050005 20000D35
	v_mul_f32_e64 v6, -v54, s6                                 // 00000000EE2C: D1050006 20000D36
	v_mul_f32_e64 v7, -v55, s6                                 // 00000000EE34: D1050007 20000D37
	v_exp_f32_e32 v4, v4                                       // 00000000EE3C: 7E084104
	v_exp_f32_e32 v5, v5                                       // 00000000EE40: 7E0A4105
	v_exp_f32_e32 v6, v6                                       // 00000000EE44: 7E0C4106
	v_exp_f32_e32 v7, v7                                       // 00000000EE48: 7E0E4107
	v_add_f32_e64 v4, v4, 1.0                                  // 00000000EE4C: D1010004 0001E504
	v_add_f32_e64 v5, v5, 1.0                                  // 00000000EE54: D1010005 0001E505
	v_add_f32_e64 v6, v6, 1.0                                  // 00000000EE5C: D1010006 0001E506
	v_add_f32_e64 v7, v7, 1.0                                  // 00000000EE64: D1010007 0001E507
	v_rcp_f32_e32 v4, v4                                       // 00000000EE6C: 7E084504
	v_rcp_f32_e32 v5, v5                                       // 00000000EE70: 7E0A4505
	v_rcp_f32_e32 v6, v6                                       // 00000000EE74: 7E0C4506
	v_rcp_f32_e32 v7, v7                                       // 00000000EE78: 7E0E4507
	v_mul_f32_e32 v52, v52, v4                                 // 00000000EE7C: 0A680934
	v_mul_f32_e32 v53, v53, v5                                 // 00000000EE80: 0A6A0B35
	v_mul_f32_e32 v54, v54, v6                                 // 00000000EE84: 0A6C0D36
	v_mul_f32_e32 v55, v55, v7                                 // 00000000EE88: 0A6E0F37
	v_mul_f32_e32 v52, v52, v116                               // 00000000EE8C: 0A68E934
	v_mul_f32_e32 v53, v53, v117                               // 00000000EE90: 0A6AEB35
	v_mul_f32_e32 v54, v54, v118                               // 00000000EE94: 0A6CED36
	v_mul_f32_e32 v55, v55, v119                               // 00000000EE98: 0A6EEF37
	v_mul_f32_e64 v4, -v56, s6                                 // 00000000EE9C: D1050004 20000D38
	v_mul_f32_e64 v5, -v57, s6                                 // 00000000EEA4: D1050005 20000D39
	v_mul_f32_e64 v6, -v58, s6                                 // 00000000EEAC: D1050006 20000D3A
	v_mul_f32_e64 v7, -v59, s6                                 // 00000000EEB4: D1050007 20000D3B
	v_exp_f32_e32 v4, v4                                       // 00000000EEBC: 7E084104
	v_exp_f32_e32 v5, v5                                       // 00000000EEC0: 7E0A4105
	v_exp_f32_e32 v6, v6                                       // 00000000EEC4: 7E0C4106
	v_exp_f32_e32 v7, v7                                       // 00000000EEC8: 7E0E4107
	v_add_f32_e64 v4, v4, 1.0                                  // 00000000EECC: D1010004 0001E504
	v_add_f32_e64 v5, v5, 1.0                                  // 00000000EED4: D1010005 0001E505
	v_add_f32_e64 v6, v6, 1.0                                  // 00000000EEDC: D1010006 0001E506
	v_add_f32_e64 v7, v7, 1.0                                  // 00000000EEE4: D1010007 0001E507
	v_rcp_f32_e32 v4, v4                                       // 00000000EEEC: 7E084504
	v_rcp_f32_e32 v5, v5                                       // 00000000EEF0: 7E0A4505
	v_rcp_f32_e32 v6, v6                                       // 00000000EEF4: 7E0C4506
	v_rcp_f32_e32 v7, v7                                       // 00000000EEF8: 7E0E4507
	v_mul_f32_e32 v56, v56, v4                                 // 00000000EEFC: 0A700938
	v_mul_f32_e32 v57, v57, v5                                 // 00000000EF00: 0A720B39
	v_mul_f32_e32 v58, v58, v6                                 // 00000000EF04: 0A740D3A
	v_mul_f32_e32 v59, v59, v7                                 // 00000000EF08: 0A760F3B
	v_mul_f32_e32 v56, v56, v120                               // 00000000EF0C: 0A70F138
	v_mul_f32_e32 v57, v57, v121                               // 00000000EF10: 0A72F339
	v_mul_f32_e32 v58, v58, v122                               // 00000000EF14: 0A74F53A
	v_mul_f32_e32 v59, v59, v123                               // 00000000EF18: 0A76F73B
	v_mul_f32_e64 v4, -v60, s6                                 // 00000000EF1C: D1050004 20000D3C
	v_mul_f32_e64 v5, -v61, s6                                 // 00000000EF24: D1050005 20000D3D
	v_mul_f32_e64 v6, -v62, s6                                 // 00000000EF2C: D1050006 20000D3E
	v_mul_f32_e64 v7, -v63, s6                                 // 00000000EF34: D1050007 20000D3F
	v_exp_f32_e32 v4, v4                                       // 00000000EF3C: 7E084104
	v_exp_f32_e32 v5, v5                                       // 00000000EF40: 7E0A4105
	v_exp_f32_e32 v6, v6                                       // 00000000EF44: 7E0C4106
	v_exp_f32_e32 v7, v7                                       // 00000000EF48: 7E0E4107
	v_add_f32_e64 v4, v4, 1.0                                  // 00000000EF4C: D1010004 0001E504
	v_add_f32_e64 v5, v5, 1.0                                  // 00000000EF54: D1010005 0001E505
	v_add_f32_e64 v6, v6, 1.0                                  // 00000000EF5C: D1010006 0001E506
	v_add_f32_e64 v7, v7, 1.0                                  // 00000000EF64: D1010007 0001E507
	v_rcp_f32_e32 v4, v4                                       // 00000000EF6C: 7E084504
	v_rcp_f32_e32 v5, v5                                       // 00000000EF70: 7E0A4505
	v_rcp_f32_e32 v6, v6                                       // 00000000EF74: 7E0C4506
	v_rcp_f32_e32 v7, v7                                       // 00000000EF78: 7E0E4507
	v_mul_f32_e32 v60, v60, v4                                 // 00000000EF7C: 0A78093C
	v_mul_f32_e32 v61, v61, v5                                 // 00000000EF80: 0A7A0B3D
	v_mul_f32_e32 v62, v62, v6                                 // 00000000EF84: 0A7C0D3E
	v_mul_f32_e32 v63, v63, v7                                 // 00000000EF88: 0A7E0F3F
	v_mul_f32_e32 v60, v60, v124                               // 00000000EF8C: 0A78F93C
	v_mul_f32_e32 v61, v61, v125                               // 00000000EF90: 0A7AFB3D
	v_mul_f32_e32 v62, v62, v126                               // 00000000EF94: 0A7CFD3E
	v_mul_f32_e32 v63, v63, v127                               // 00000000EF98: 0A7EFF3F
	v_mul_f32_e64 v4, -v64, s6                                 // 00000000EF9C: D1050004 20000D40
	v_mul_f32_e64 v5, -v65, s6                                 // 00000000EFA4: D1050005 20000D41
	v_mul_f32_e64 v6, -v66, s6                                 // 00000000EFAC: D1050006 20000D42
	v_mul_f32_e64 v7, -v67, s6                                 // 00000000EFB4: D1050007 20000D43
	v_exp_f32_e32 v4, v4                                       // 00000000EFBC: 7E084104
	v_exp_f32_e32 v5, v5                                       // 00000000EFC0: 7E0A4105
	v_exp_f32_e32 v6, v6                                       // 00000000EFC4: 7E0C4106
	v_exp_f32_e32 v7, v7                                       // 00000000EFC8: 7E0E4107
	v_add_f32_e64 v4, v4, 1.0                                  // 00000000EFCC: D1010004 0001E504
	v_add_f32_e64 v5, v5, 1.0                                  // 00000000EFD4: D1010005 0001E505
	v_add_f32_e64 v6, v6, 1.0                                  // 00000000EFDC: D1010006 0001E506
	v_add_f32_e64 v7, v7, 1.0                                  // 00000000EFE4: D1010007 0001E507
	v_rcp_f32_e32 v4, v4                                       // 00000000EFEC: 7E084504
	v_rcp_f32_e32 v5, v5                                       // 00000000EFF0: 7E0A4505
	v_rcp_f32_e32 v6, v6                                       // 00000000EFF4: 7E0C4506
	v_rcp_f32_e32 v7, v7                                       // 00000000EFF8: 7E0E4507
	v_mul_f32_e32 v64, v64, v4                                 // 00000000EFFC: 0A800940
	v_mul_f32_e32 v65, v65, v5                                 // 00000000F000: 0A820B41
	v_mul_f32_e32 v66, v66, v6                                 // 00000000F004: 0A840D42
	v_mul_f32_e32 v67, v67, v7                                 // 00000000F008: 0A860F43
	v_mul_f32_e32 v64, v64, v128                               // 00000000F00C: 0A810140
	v_mul_f32_e32 v65, v65, v129                               // 00000000F010: 0A830341
	v_mul_f32_e32 v66, v66, v130                               // 00000000F014: 0A850542
	v_mul_f32_e32 v67, v67, v131                               // 00000000F018: 0A870743
	v_mul_f32_e64 v4, -v68, s6                                 // 00000000F01C: D1050004 20000D44
	v_mul_f32_e64 v5, -v69, s6                                 // 00000000F024: D1050005 20000D45
	v_mul_f32_e64 v6, -v70, s6                                 // 00000000F02C: D1050006 20000D46
	v_mul_f32_e64 v7, -v71, s6                                 // 00000000F034: D1050007 20000D47
	v_exp_f32_e32 v4, v4                                       // 00000000F03C: 7E084104
	v_exp_f32_e32 v5, v5                                       // 00000000F040: 7E0A4105
	v_exp_f32_e32 v6, v6                                       // 00000000F044: 7E0C4106
	v_exp_f32_e32 v7, v7                                       // 00000000F048: 7E0E4107
	v_add_f32_e64 v4, v4, 1.0                                  // 00000000F04C: D1010004 0001E504
	v_add_f32_e64 v5, v5, 1.0                                  // 00000000F054: D1010005 0001E505
	v_add_f32_e64 v6, v6, 1.0                                  // 00000000F05C: D1010006 0001E506
	v_add_f32_e64 v7, v7, 1.0                                  // 00000000F064: D1010007 0001E507
	v_rcp_f32_e32 v4, v4                                       // 00000000F06C: 7E084504
	v_rcp_f32_e32 v5, v5                                       // 00000000F070: 7E0A4505
	v_rcp_f32_e32 v6, v6                                       // 00000000F074: 7E0C4506
	v_rcp_f32_e32 v7, v7                                       // 00000000F078: 7E0E4507
	v_mul_f32_e32 v68, v68, v4                                 // 00000000F07C: 0A880944
	v_mul_f32_e32 v69, v69, v5                                 // 00000000F080: 0A8A0B45
	v_mul_f32_e32 v70, v70, v6                                 // 00000000F084: 0A8C0D46
	v_mul_f32_e32 v71, v71, v7                                 // 00000000F088: 0A8E0F47
	v_mul_f32_e32 v68, v68, v132                               // 00000000F08C: 0A890944
	v_mul_f32_e32 v69, v69, v133                               // 00000000F090: 0A8B0B45
	v_mul_f32_e32 v70, v70, v134                               // 00000000F094: 0A8D0D46
	v_mul_f32_e32 v71, v71, v135                               // 00000000F098: 0A8F0F47
	v_mul_f32_e64 v4, -v72, s6                                 // 00000000F09C: D1050004 20000D48
	v_mul_f32_e64 v5, -v73, s6                                 // 00000000F0A4: D1050005 20000D49
	v_mul_f32_e64 v6, -v74, s6                                 // 00000000F0AC: D1050006 20000D4A
	v_mul_f32_e64 v7, -v75, s6                                 // 00000000F0B4: D1050007 20000D4B
	v_exp_f32_e32 v4, v4                                       // 00000000F0BC: 7E084104
	v_exp_f32_e32 v5, v5                                       // 00000000F0C0: 7E0A4105
	v_exp_f32_e32 v6, v6                                       // 00000000F0C4: 7E0C4106
	v_exp_f32_e32 v7, v7                                       // 00000000F0C8: 7E0E4107
	v_add_f32_e64 v4, v4, 1.0                                  // 00000000F0CC: D1010004 0001E504
	v_add_f32_e64 v5, v5, 1.0                                  // 00000000F0D4: D1010005 0001E505
	v_add_f32_e64 v6, v6, 1.0                                  // 00000000F0DC: D1010006 0001E506
	v_add_f32_e64 v7, v7, 1.0                                  // 00000000F0E4: D1010007 0001E507
	v_rcp_f32_e32 v4, v4                                       // 00000000F0EC: 7E084504
	v_rcp_f32_e32 v5, v5                                       // 00000000F0F0: 7E0A4505
	v_rcp_f32_e32 v6, v6                                       // 00000000F0F4: 7E0C4506
	v_rcp_f32_e32 v7, v7                                       // 00000000F0F8: 7E0E4507
	v_mul_f32_e32 v72, v72, v4                                 // 00000000F0FC: 0A900948
	v_mul_f32_e32 v73, v73, v5                                 // 00000000F100: 0A920B49
	v_mul_f32_e32 v74, v74, v6                                 // 00000000F104: 0A940D4A
	v_mul_f32_e32 v75, v75, v7                                 // 00000000F108: 0A960F4B
	v_mul_f32_e32 v72, v72, v136                               // 00000000F10C: 0A911148
	v_mul_f32_e32 v73, v73, v137                               // 00000000F110: 0A931349
	v_mul_f32_e32 v74, v74, v138                               // 00000000F114: 0A95154A
	v_mul_f32_e32 v75, v75, v139                               // 00000000F118: 0A97174B
	v_mul_f32_e64 v4, -v76, s6                                 // 00000000F11C: D1050004 20000D4C
	v_mul_f32_e64 v5, -v77, s6                                 // 00000000F124: D1050005 20000D4D
	v_mul_f32_e64 v6, -v78, s6                                 // 00000000F12C: D1050006 20000D4E
	v_mul_f32_e64 v7, -v79, s6                                 // 00000000F134: D1050007 20000D4F
	v_exp_f32_e32 v4, v4                                       // 00000000F13C: 7E084104
	v_exp_f32_e32 v5, v5                                       // 00000000F140: 7E0A4105
	v_exp_f32_e32 v6, v6                                       // 00000000F144: 7E0C4106
	v_exp_f32_e32 v7, v7                                       // 00000000F148: 7E0E4107
	v_add_f32_e64 v4, v4, 1.0                                  // 00000000F14C: D1010004 0001E504
	v_add_f32_e64 v5, v5, 1.0                                  // 00000000F154: D1010005 0001E505
	v_add_f32_e64 v6, v6, 1.0                                  // 00000000F15C: D1010006 0001E506
	v_add_f32_e64 v7, v7, 1.0                                  // 00000000F164: D1010007 0001E507
	v_rcp_f32_e32 v4, v4                                       // 00000000F16C: 7E084504
	v_rcp_f32_e32 v5, v5                                       // 00000000F170: 7E0A4505
	v_rcp_f32_e32 v6, v6                                       // 00000000F174: 7E0C4506
	v_rcp_f32_e32 v7, v7                                       // 00000000F178: 7E0E4507
	v_mul_f32_e32 v76, v76, v4                                 // 00000000F17C: 0A98094C
	v_mul_f32_e32 v77, v77, v5                                 // 00000000F180: 0A9A0B4D
	v_mul_f32_e32 v78, v78, v6                                 // 00000000F184: 0A9C0D4E
	v_mul_f32_e32 v79, v79, v7                                 // 00000000F188: 0A9E0F4F
	v_mul_f32_e32 v76, v76, v140                               // 00000000F18C: 0A99194C
	v_mul_f32_e32 v77, v77, v141                               // 00000000F190: 0A9B1B4D
	v_mul_f32_e32 v78, v78, v142                               // 00000000F194: 0A9D1D4E
	v_mul_f32_e32 v79, v79, v143                               // 00000000F198: 0A9F1F4F
	v_mul_f32_e64 v4, -v80, s6                                 // 00000000F19C: D1050004 20000D50
	v_mul_f32_e64 v5, -v81, s6                                 // 00000000F1A4: D1050005 20000D51
	v_mul_f32_e64 v6, -v82, s6                                 // 00000000F1AC: D1050006 20000D52
	v_mul_f32_e64 v7, -v83, s6                                 // 00000000F1B4: D1050007 20000D53
	v_exp_f32_e32 v4, v4                                       // 00000000F1BC: 7E084104
	v_exp_f32_e32 v5, v5                                       // 00000000F1C0: 7E0A4105
	v_exp_f32_e32 v6, v6                                       // 00000000F1C4: 7E0C4106
	v_exp_f32_e32 v7, v7                                       // 00000000F1C8: 7E0E4107
	v_add_f32_e64 v4, v4, 1.0                                  // 00000000F1CC: D1010004 0001E504
	v_add_f32_e64 v5, v5, 1.0                                  // 00000000F1D4: D1010005 0001E505
	v_add_f32_e64 v6, v6, 1.0                                  // 00000000F1DC: D1010006 0001E506
	v_add_f32_e64 v7, v7, 1.0                                  // 00000000F1E4: D1010007 0001E507
	v_rcp_f32_e32 v4, v4                                       // 00000000F1EC: 7E084504
	v_rcp_f32_e32 v5, v5                                       // 00000000F1F0: 7E0A4505
	v_rcp_f32_e32 v6, v6                                       // 00000000F1F4: 7E0C4506
	v_rcp_f32_e32 v7, v7                                       // 00000000F1F8: 7E0E4507
	v_mul_f32_e32 v80, v80, v4                                 // 00000000F1FC: 0AA00950
	v_mul_f32_e32 v81, v81, v5                                 // 00000000F200: 0AA20B51
	v_mul_f32_e32 v82, v82, v6                                 // 00000000F204: 0AA40D52
	v_mul_f32_e32 v83, v83, v7                                 // 00000000F208: 0AA60F53
	v_mul_f32_e32 v80, v80, v144                               // 00000000F20C: 0AA12150
	v_mul_f32_e32 v81, v81, v145                               // 00000000F210: 0AA32351
	v_mul_f32_e32 v82, v82, v146                               // 00000000F214: 0AA52552
	v_mul_f32_e32 v83, v83, v147                               // 00000000F218: 0AA72753
	v_mul_f32_e64 v4, -v84, s6                                 // 00000000F21C: D1050004 20000D54
	v_mul_f32_e64 v5, -v85, s6                                 // 00000000F224: D1050005 20000D55
	v_mul_f32_e64 v6, -v86, s6                                 // 00000000F22C: D1050006 20000D56
	v_mul_f32_e64 v7, -v87, s6                                 // 00000000F234: D1050007 20000D57
	v_exp_f32_e32 v4, v4                                       // 00000000F23C: 7E084104
	v_exp_f32_e32 v5, v5                                       // 00000000F240: 7E0A4105
	v_exp_f32_e32 v6, v6                                       // 00000000F244: 7E0C4106
	v_exp_f32_e32 v7, v7                                       // 00000000F248: 7E0E4107
	v_add_f32_e64 v4, v4, 1.0                                  // 00000000F24C: D1010004 0001E504
	v_add_f32_e64 v5, v5, 1.0                                  // 00000000F254: D1010005 0001E505
	v_add_f32_e64 v6, v6, 1.0                                  // 00000000F25C: D1010006 0001E506
	v_add_f32_e64 v7, v7, 1.0                                  // 00000000F264: D1010007 0001E507
	v_rcp_f32_e32 v4, v4                                       // 00000000F26C: 7E084504
	v_rcp_f32_e32 v5, v5                                       // 00000000F270: 7E0A4505
	v_rcp_f32_e32 v6, v6                                       // 00000000F274: 7E0C4506
	v_rcp_f32_e32 v7, v7                                       // 00000000F278: 7E0E4507
	v_mul_f32_e32 v84, v84, v4                                 // 00000000F27C: 0AA80954
	v_mul_f32_e32 v85, v85, v5                                 // 00000000F280: 0AAA0B55
	v_mul_f32_e32 v86, v86, v6                                 // 00000000F284: 0AAC0D56
	v_mul_f32_e32 v87, v87, v7                                 // 00000000F288: 0AAE0F57
	v_mul_f32_e32 v84, v84, v148                               // 00000000F28C: 0AA92954
	v_mul_f32_e32 v85, v85, v149                               // 00000000F290: 0AAB2B55
	v_mul_f32_e32 v86, v86, v150                               // 00000000F294: 0AAD2D56
	v_mul_f32_e32 v87, v87, v151                               // 00000000F298: 0AAF2F57
	v_mul_f32_e64 v4, -v88, s6                                 // 00000000F29C: D1050004 20000D58
	v_mul_f32_e64 v5, -v89, s6                                 // 00000000F2A4: D1050005 20000D59
	v_mul_f32_e64 v6, -v90, s6                                 // 00000000F2AC: D1050006 20000D5A
	v_mul_f32_e64 v7, -v91, s6                                 // 00000000F2B4: D1050007 20000D5B
	v_exp_f32_e32 v4, v4                                       // 00000000F2BC: 7E084104
	v_exp_f32_e32 v5, v5                                       // 00000000F2C0: 7E0A4105
	v_exp_f32_e32 v6, v6                                       // 00000000F2C4: 7E0C4106
	v_exp_f32_e32 v7, v7                                       // 00000000F2C8: 7E0E4107
	v_add_f32_e64 v4, v4, 1.0                                  // 00000000F2CC: D1010004 0001E504
	v_add_f32_e64 v5, v5, 1.0                                  // 00000000F2D4: D1010005 0001E505
	v_add_f32_e64 v6, v6, 1.0                                  // 00000000F2DC: D1010006 0001E506
	v_add_f32_e64 v7, v7, 1.0                                  // 00000000F2E4: D1010007 0001E507
	v_rcp_f32_e32 v4, v4                                       // 00000000F2EC: 7E084504
	v_rcp_f32_e32 v5, v5                                       // 00000000F2F0: 7E0A4505
	v_rcp_f32_e32 v6, v6                                       // 00000000F2F4: 7E0C4506
	v_rcp_f32_e32 v7, v7                                       // 00000000F2F8: 7E0E4507
	v_mul_f32_e32 v88, v88, v4                                 // 00000000F2FC: 0AB00958
	v_mul_f32_e32 v89, v89, v5                                 // 00000000F300: 0AB20B59
	v_mul_f32_e32 v90, v90, v6                                 // 00000000F304: 0AB40D5A
	v_mul_f32_e32 v91, v91, v7                                 // 00000000F308: 0AB60F5B
	v_mul_f32_e32 v88, v88, v152                               // 00000000F30C: 0AB13158
	v_mul_f32_e32 v89, v89, v153                               // 00000000F310: 0AB33359
	v_mul_f32_e32 v90, v90, v154                               // 00000000F314: 0AB5355A
	v_mul_f32_e32 v91, v91, v155                               // 00000000F318: 0AB7375B
	v_mul_f32_e64 v4, -v92, s6                                 // 00000000F31C: D1050004 20000D5C
	v_mul_f32_e64 v5, -v93, s6                                 // 00000000F324: D1050005 20000D5D
	v_mul_f32_e64 v6, -v94, s6                                 // 00000000F32C: D1050006 20000D5E
	v_mul_f32_e64 v7, -v95, s6                                 // 00000000F334: D1050007 20000D5F
	v_exp_f32_e32 v4, v4                                       // 00000000F33C: 7E084104
	v_exp_f32_e32 v5, v5                                       // 00000000F340: 7E0A4105
	v_exp_f32_e32 v6, v6                                       // 00000000F344: 7E0C4106
	v_exp_f32_e32 v7, v7                                       // 00000000F348: 7E0E4107
	v_add_f32_e64 v4, v4, 1.0                                  // 00000000F34C: D1010004 0001E504
	v_add_f32_e64 v5, v5, 1.0                                  // 00000000F354: D1010005 0001E505
	v_add_f32_e64 v6, v6, 1.0                                  // 00000000F35C: D1010006 0001E506
	v_add_f32_e64 v7, v7, 1.0                                  // 00000000F364: D1010007 0001E507
	v_rcp_f32_e32 v4, v4                                       // 00000000F36C: 7E084504
	v_rcp_f32_e32 v5, v5                                       // 00000000F370: 7E0A4505
	v_rcp_f32_e32 v6, v6                                       // 00000000F374: 7E0C4506
	v_rcp_f32_e32 v7, v7                                       // 00000000F378: 7E0E4507
	v_mul_f32_e32 v92, v92, v4                                 // 00000000F37C: 0AB8095C
	v_mul_f32_e32 v93, v93, v5                                 // 00000000F380: 0ABA0B5D
	v_mul_f32_e32 v94, v94, v6                                 // 00000000F384: 0ABC0D5E
	v_mul_f32_e32 v95, v95, v7                                 // 00000000F388: 0ABE0F5F
	v_mul_f32_e32 v92, v92, v156                               // 00000000F38C: 0AB9395C
	v_mul_f32_e32 v93, v93, v157                               // 00000000F390: 0ABB3B5D
	v_mul_f32_e32 v94, v94, v158                               // 00000000F394: 0ABD3D5E
	v_mul_f32_e32 v95, v95, v159                               // 00000000F398: 0ABF3F5F
	v_mul_f32_e64 v4, -v96, s6                                 // 00000000F39C: D1050004 20000D60
	v_mul_f32_e64 v5, -v97, s6                                 // 00000000F3A4: D1050005 20000D61
	v_mul_f32_e64 v6, -v98, s6                                 // 00000000F3AC: D1050006 20000D62
	v_mul_f32_e64 v7, -v99, s6                                 // 00000000F3B4: D1050007 20000D63
	v_exp_f32_e32 v4, v4                                       // 00000000F3BC: 7E084104
	v_exp_f32_e32 v5, v5                                       // 00000000F3C0: 7E0A4105
	v_exp_f32_e32 v6, v6                                       // 00000000F3C4: 7E0C4106
	v_exp_f32_e32 v7, v7                                       // 00000000F3C8: 7E0E4107
	v_add_f32_e64 v4, v4, 1.0                                  // 00000000F3CC: D1010004 0001E504
	v_add_f32_e64 v5, v5, 1.0                                  // 00000000F3D4: D1010005 0001E505
	v_add_f32_e64 v6, v6, 1.0                                  // 00000000F3DC: D1010006 0001E506
	v_add_f32_e64 v7, v7, 1.0                                  // 00000000F3E4: D1010007 0001E507
	v_rcp_f32_e32 v4, v4                                       // 00000000F3EC: 7E084504
	v_rcp_f32_e32 v5, v5                                       // 00000000F3F0: 7E0A4505
	v_rcp_f32_e32 v6, v6                                       // 00000000F3F4: 7E0C4506
	v_rcp_f32_e32 v7, v7                                       // 00000000F3F8: 7E0E4507
	v_mul_f32_e32 v96, v96, v4                                 // 00000000F3FC: 0AC00960
	v_mul_f32_e32 v97, v97, v5                                 // 00000000F400: 0AC20B61
	v_mul_f32_e32 v98, v98, v6                                 // 00000000F404: 0AC40D62
	v_mul_f32_e32 v99, v99, v7                                 // 00000000F408: 0AC60F63
	v_mul_f32_e32 v96, v96, v160                               // 00000000F40C: 0AC14160
	v_mul_f32_e32 v97, v97, v161                               // 00000000F410: 0AC34361
	v_mul_f32_e32 v98, v98, v162                               // 00000000F414: 0AC54562
	v_mul_f32_e32 v99, v99, v163                               // 00000000F418: 0AC74763
	v_mul_f32_e64 v4, -v100, s6                                // 00000000F41C: D1050004 20000D64
	v_mul_f32_e64 v5, -v101, s6                                // 00000000F424: D1050005 20000D65
	v_mul_f32_e64 v6, -v102, s6                                // 00000000F42C: D1050006 20000D66
	v_mul_f32_e64 v7, -v103, s6                                // 00000000F434: D1050007 20000D67
	v_exp_f32_e32 v4, v4                                       // 00000000F43C: 7E084104
	v_exp_f32_e32 v5, v5                                       // 00000000F440: 7E0A4105
	v_exp_f32_e32 v6, v6                                       // 00000000F444: 7E0C4106
	v_exp_f32_e32 v7, v7                                       // 00000000F448: 7E0E4107
	v_add_f32_e64 v4, v4, 1.0                                  // 00000000F44C: D1010004 0001E504
	v_add_f32_e64 v5, v5, 1.0                                  // 00000000F454: D1010005 0001E505
	v_add_f32_e64 v6, v6, 1.0                                  // 00000000F45C: D1010006 0001E506
	v_add_f32_e64 v7, v7, 1.0                                  // 00000000F464: D1010007 0001E507
	v_rcp_f32_e32 v4, v4                                       // 00000000F46C: 7E084504
	v_rcp_f32_e32 v5, v5                                       // 00000000F470: 7E0A4505
	v_rcp_f32_e32 v6, v6                                       // 00000000F474: 7E0C4506
	v_rcp_f32_e32 v7, v7                                       // 00000000F478: 7E0E4507
	v_mul_f32_e32 v100, v100, v4                               // 00000000F47C: 0AC80964
	v_mul_f32_e32 v101, v101, v5                               // 00000000F480: 0ACA0B65
	v_mul_f32_e32 v102, v102, v6                               // 00000000F484: 0ACC0D66
	v_mul_f32_e32 v103, v103, v7                               // 00000000F488: 0ACE0F67
	v_mul_f32_e32 v100, v100, v164                             // 00000000F48C: 0AC94964
	v_mul_f32_e32 v101, v101, v165                             // 00000000F490: 0ACB4B65
	v_mul_f32_e32 v102, v102, v166                             // 00000000F494: 0ACD4D66
	v_mul_f32_e32 v103, v103, v167                             // 00000000F498: 0ACF4F67
	v_mul_f32_e64 v4, -v104, s6                                // 00000000F49C: D1050004 20000D68
	v_mul_f32_e64 v5, -v105, s6                                // 00000000F4A4: D1050005 20000D69
	v_mul_f32_e64 v6, -v106, s6                                // 00000000F4AC: D1050006 20000D6A
	v_mul_f32_e64 v7, -v107, s6                                // 00000000F4B4: D1050007 20000D6B
	v_exp_f32_e32 v4, v4                                       // 00000000F4BC: 7E084104
	v_exp_f32_e32 v5, v5                                       // 00000000F4C0: 7E0A4105
	v_exp_f32_e32 v6, v6                                       // 00000000F4C4: 7E0C4106
	v_exp_f32_e32 v7, v7                                       // 00000000F4C8: 7E0E4107
	v_add_f32_e64 v4, v4, 1.0                                  // 00000000F4CC: D1010004 0001E504
	v_add_f32_e64 v5, v5, 1.0                                  // 00000000F4D4: D1010005 0001E505
	v_add_f32_e64 v6, v6, 1.0                                  // 00000000F4DC: D1010006 0001E506
	v_add_f32_e64 v7, v7, 1.0                                  // 00000000F4E4: D1010007 0001E507
	v_rcp_f32_e32 v4, v4                                       // 00000000F4EC: 7E084504
	v_rcp_f32_e32 v5, v5                                       // 00000000F4F0: 7E0A4505
	v_rcp_f32_e32 v6, v6                                       // 00000000F4F4: 7E0C4506
	v_rcp_f32_e32 v7, v7                                       // 00000000F4F8: 7E0E4507
	v_mul_f32_e32 v104, v104, v4                               // 00000000F4FC: 0AD00968
	v_mul_f32_e32 v105, v105, v5                               // 00000000F500: 0AD20B69
	v_mul_f32_e32 v106, v106, v6                               // 00000000F504: 0AD40D6A
	v_mul_f32_e32 v107, v107, v7                               // 00000000F508: 0AD60F6B
	v_mul_f32_e32 v104, v104, v168                             // 00000000F50C: 0AD15168
	v_mul_f32_e32 v105, v105, v169                             // 00000000F510: 0AD35369
	v_mul_f32_e32 v106, v106, v170                             // 00000000F514: 0AD5556A
	v_mul_f32_e32 v107, v107, v171                             // 00000000F518: 0AD7576B
	v_mul_f32_e64 v4, -v108, s6                                // 00000000F51C: D1050004 20000D6C
	v_mul_f32_e64 v5, -v109, s6                                // 00000000F524: D1050005 20000D6D
	v_mul_f32_e64 v6, -v110, s6                                // 00000000F52C: D1050006 20000D6E
	v_mul_f32_e64 v7, -v111, s6                                // 00000000F534: D1050007 20000D6F
	v_exp_f32_e32 v4, v4                                       // 00000000F53C: 7E084104
	v_exp_f32_e32 v5, v5                                       // 00000000F540: 7E0A4105
	v_exp_f32_e32 v6, v6                                       // 00000000F544: 7E0C4106
	v_exp_f32_e32 v7, v7                                       // 00000000F548: 7E0E4107
	v_add_f32_e64 v4, v4, 1.0                                  // 00000000F54C: D1010004 0001E504
	v_add_f32_e64 v5, v5, 1.0                                  // 00000000F554: D1010005 0001E505
	v_add_f32_e64 v6, v6, 1.0                                  // 00000000F55C: D1010006 0001E506
	v_add_f32_e64 v7, v7, 1.0                                  // 00000000F564: D1010007 0001E507
	v_rcp_f32_e32 v4, v4                                       // 00000000F56C: 7E084504
	v_rcp_f32_e32 v5, v5                                       // 00000000F570: 7E0A4505
	v_rcp_f32_e32 v6, v6                                       // 00000000F574: 7E0C4506
	v_rcp_f32_e32 v7, v7                                       // 00000000F578: 7E0E4507
	v_mul_f32_e32 v108, v108, v4                               // 00000000F57C: 0AD8096C
	v_mul_f32_e32 v109, v109, v5                               // 00000000F580: 0ADA0B6D
	v_mul_f32_e32 v110, v110, v6                               // 00000000F584: 0ADC0D6E
	v_mul_f32_e32 v111, v111, v7                               // 00000000F588: 0ADE0F6F
	v_mul_f32_e32 v108, v108, v172                             // 00000000F58C: 0AD9596C
	v_mul_f32_e32 v109, v109, v173                             // 00000000F590: 0ADB5B6D
	v_mul_f32_e32 v110, v110, v174                             // 00000000F594: 0ADD5D6E
	v_mul_f32_e32 v111, v111, v175                             // 00000000F598: 0ADF5F6F
	v_mul_f32_e64 v4, -v112, s6                                // 00000000F59C: D1050004 20000D70
	v_mul_f32_e64 v5, -v113, s6                                // 00000000F5A4: D1050005 20000D71
	v_mul_f32_e64 v6, -v114, s6                                // 00000000F5AC: D1050006 20000D72
	v_mul_f32_e64 v7, -v115, s6                                // 00000000F5B4: D1050007 20000D73
	v_exp_f32_e32 v4, v4                                       // 00000000F5BC: 7E084104
	v_exp_f32_e32 v5, v5                                       // 00000000F5C0: 7E0A4105
	v_exp_f32_e32 v6, v6                                       // 00000000F5C4: 7E0C4106
	v_exp_f32_e32 v7, v7                                       // 00000000F5C8: 7E0E4107
	v_add_f32_e64 v4, v4, 1.0                                  // 00000000F5CC: D1010004 0001E504
	v_add_f32_e64 v5, v5, 1.0                                  // 00000000F5D4: D1010005 0001E505
	v_add_f32_e64 v6, v6, 1.0                                  // 00000000F5DC: D1010006 0001E506
	v_add_f32_e64 v7, v7, 1.0                                  // 00000000F5E4: D1010007 0001E507
	v_rcp_f32_e32 v4, v4                                       // 00000000F5EC: 7E084504
	v_rcp_f32_e32 v5, v5                                       // 00000000F5F0: 7E0A4505
	v_rcp_f32_e32 v6, v6                                       // 00000000F5F4: 7E0C4506
	v_rcp_f32_e32 v7, v7                                       // 00000000F5F8: 7E0E4507
	v_mul_f32_e32 v112, v112, v4                               // 00000000F5FC: 0AE00970
	v_mul_f32_e32 v113, v113, v5                               // 00000000F600: 0AE20B71
	v_mul_f32_e32 v114, v114, v6                               // 00000000F604: 0AE40D72
	v_mul_f32_e32 v115, v115, v7                               // 00000000F608: 0AE60F73
	v_mul_f32_e32 v112, v112, v176                             // 00000000F60C: 0AE16170
	v_mul_f32_e32 v113, v113, v177                             // 00000000F610: 0AE36371
	v_mul_f32_e32 v114, v114, v178                             // 00000000F614: 0AE56572
	v_mul_f32_e32 v115, v115, v179                             // 00000000F618: 0AE76773

000000000000f61c <label_330A>:
	s_cmp_eq_u32 s7, 0                                         // 00000000F61C: BF068007
	s_cbranch_scc0 label_3314                                  // 00000000F620: BF840008
	v_and_b32_e32 v4, 15, v0                                   // 00000000F624: 2608008F
	v_lshlrev_b32_e32 v4, 2, v4                                // 00000000F628: 24080882
	buffer_load_dword v30, v4, s[12:15], 0 offen               // 00000000F62C: E0501000 80031E04
	v_add_u32_e32 v4, 64, v4                                   // 00000000F634: 680808C0
	buffer_load_dword v31, v4, s[12:15], 0 offen               // 00000000F638: E0501000 80031F04
	v_add_u32_e32 v4, 64, v4                                   // 00000000F640: 680808C0

000000000000f644 <label_3314>:
	v_lshlrev_b32_e32 v4, 2, v0                                // 00000000F644: 24080082
	s_mul_i32 s60, 0x100, s7                                   // 00000000F648: 923C07FF 00000100
	v_add_u32_e32 v124, s60, v4                                // 00000000F650: 68F8083C
	v_and_b32_e32 v4, 15, v0                                   // 00000000F654: 2608008F
	v_lshlrev_b32_e32 v125, 2, v4                              // 00000000F658: 24FA0882
	s_waitcnt lgkmcnt(0)                                       // 00000000F65C: BF8CC07F
	s_barrier                                                  // 00000000F660: BF8A0000
	v_mov_b32_e32 v116, 0x358637bd                             // 00000000F664: 7EE802FF 358637BD
	v_max3_f32 v116, |v52|, |v53|, v116                        // 00000000F66C: D1D30374 05D26B34
	v_max3_f32 v116, |v54|, |v55|, v116                        // 00000000F674: D1D30374 05D26F36
	v_max3_f32 v116, |v60|, |v61|, v116                        // 00000000F67C: D1D30374 05D27B3C
	v_max3_f32 v116, |v62|, |v63|, v116                        // 00000000F684: D1D30374 05D27F3E
	ds_write_b32 v124, v116                                    // 00000000F68C: D81A0000 0000747C
	s_waitcnt lgkmcnt(0)                                       // 00000000F694: BF8CC07F
	s_barrier                                                  // 00000000F698: BF8A0000
	ds_read_b32 v4, v125                                       // 00000000F69C: D86C0000 0400007D
	ds_read_b32 v5, v125 offset:64                             // 00000000F6A4: D86C0040 0500007D
	ds_read_b32 v6, v125 offset:128                            // 00000000F6AC: D86C0080 0600007D
	ds_read_b32 v7, v125 offset:192                            // 00000000F6B4: D86C00C0 0700007D
	ds_read_b32 v8, v125 offset:256                            // 00000000F6BC: D86C0100 0800007D
	ds_read_b32 v9, v125 offset:320                            // 00000000F6C4: D86C0140 0900007D
	ds_read_b32 v10, v125 offset:384                           // 00000000F6CC: D86C0180 0A00007D
	ds_read_b32 v11, v125 offset:448                           // 00000000F6D4: D86C01C0 0B00007D
	ds_read_b32 v12, v125 offset:512                           // 00000000F6DC: D86C0200 0C00007D
	ds_read_b32 v13, v125 offset:576                           // 00000000F6E4: D86C0240 0D00007D
	ds_read_b32 v14, v125 offset:640                           // 00000000F6EC: D86C0280 0E00007D
	ds_read_b32 v15, v125 offset:704                           // 00000000F6F4: D86C02C0 0F00007D
	ds_read_b32 v16, v125 offset:768                           // 00000000F6FC: D86C0300 1000007D
	ds_read_b32 v17, v125 offset:832                           // 00000000F704: D86C0340 1100007D
	ds_read_b32 v18, v125 offset:896                           // 00000000F70C: D86C0380 1200007D
	ds_read_b32 v19, v125 offset:960                           // 00000000F714: D86C03C0 1300007D
	s_waitcnt lgkmcnt(0)                                       // 00000000F71C: BF8CC07F
	s_barrier                                                  // 00000000F720: BF8A0000
	v_max3_f32 v116, |v4|, |v5|, v116                          // 00000000F724: D1D30374 05D20B04
	v_max3_f32 v116, |v6|, |v7|, v116                          // 00000000F72C: D1D30374 05D20F06
	v_max3_f32 v116, |v8|, |v9|, v116                          // 00000000F734: D1D30374 05D21308
	v_max3_f32 v116, |v10|, |v11|, v116                        // 00000000F73C: D1D30374 05D2170A
	v_max3_f32 v116, |v12|, |v13|, v116                        // 00000000F744: D1D30374 05D21B0C
	v_max3_f32 v116, |v14|, |v15|, v116                        // 00000000F74C: D1D30374 05D21F0E
	v_max3_f32 v116, |v16|, |v17|, v116                        // 00000000F754: D1D30374 05D22310
	v_max3_f32 v116, |v18|, |v19|, v116                        // 00000000F75C: D1D30374 05D22712
	v_rcp_f32_e32 v116, v116                                   // 00000000F764: 7EE84574
	v_mov_b32_e32 v4, 0x43700000                               // 00000000F768: 7E0802FF 43700000
	v_mul_f32_e32 v116, v4, v116                               // 00000000F770: 0AE8E904
	v_mov_b32_e32 v4, v116                                     // 00000000F774: 7E080374
	v_mov_b32_e32 v5, v4                                       // 00000000F778: 7E0A0304
	v_pk_mul_f32 v[52:53], v[4:5], v[52:53]                    // 00000000F77C: D3B14034 18026904
	v_pk_mul_f32 v[54:55], v[4:5], v[54:55]                    // 00000000F784: D3B14036 18026D04
	v_cvt_pk_fp8_f32 v52, v52, v53                             // 00000000F78C: D2A20034 00026B34
	v_cvt_pk_fp8_f32 v52, v54, v55 op_sel:[0,0,1]              // 00000000F794: D2A24034 00026F36
	v_pk_mul_f32 v[60:61], v[4:5], v[60:61]                    // 00000000F79C: D3B1403C 18027904
	v_pk_mul_f32 v[62:63], v[4:5], v[62:63]                    // 00000000F7A4: D3B1403E 18027D04
	v_cvt_pk_fp8_f32 v60, v60, v61                             // 00000000F7AC: D2A2003C 00027B3C
	v_cvt_pk_fp8_f32 v60, v62, v63 op_sel:[0,0,1]              // 00000000F7B4: D2A2403C 00027F3E
	v_rcp_f32_e32 v116, v116                                   // 00000000F7BC: 7EE84574
	v_mov_b32_e32 v118, 0x358637bd                             // 00000000F7C0: 7EEC02FF 358637BD
	v_max3_f32 v118, |v68|, |v69|, v118                        // 00000000F7C8: D1D30376 05DA8B44
	v_max3_f32 v118, |v70|, |v71|, v118                        // 00000000F7D0: D1D30376 05DA8F46
	v_max3_f32 v118, |v76|, |v77|, v118                        // 00000000F7D8: D1D30376 05DA9B4C
	v_max3_f32 v118, |v78|, |v79|, v118                        // 00000000F7E0: D1D30376 05DA9F4E
	ds_write_b32 v124, v118                                    // 00000000F7E8: D81A0000 0000767C
	s_waitcnt lgkmcnt(0)                                       // 00000000F7F0: BF8CC07F
	s_barrier                                                  // 00000000F7F4: BF8A0000
	ds_read_b32 v4, v125                                       // 00000000F7F8: D86C0000 0400007D
	ds_read_b32 v5, v125 offset:64                             // 00000000F800: D86C0040 0500007D
	ds_read_b32 v6, v125 offset:128                            // 00000000F808: D86C0080 0600007D
	ds_read_b32 v7, v125 offset:192                            // 00000000F810: D86C00C0 0700007D
	ds_read_b32 v8, v125 offset:256                            // 00000000F818: D86C0100 0800007D
	ds_read_b32 v9, v125 offset:320                            // 00000000F820: D86C0140 0900007D
	ds_read_b32 v10, v125 offset:384                           // 00000000F828: D86C0180 0A00007D
	ds_read_b32 v11, v125 offset:448                           // 00000000F830: D86C01C0 0B00007D
	ds_read_b32 v12, v125 offset:512                           // 00000000F838: D86C0200 0C00007D
	ds_read_b32 v13, v125 offset:576                           // 00000000F840: D86C0240 0D00007D
	ds_read_b32 v14, v125 offset:640                           // 00000000F848: D86C0280 0E00007D
	ds_read_b32 v15, v125 offset:704                           // 00000000F850: D86C02C0 0F00007D
	ds_read_b32 v16, v125 offset:768                           // 00000000F858: D86C0300 1000007D
	ds_read_b32 v17, v125 offset:832                           // 00000000F860: D86C0340 1100007D
	ds_read_b32 v18, v125 offset:896                           // 00000000F868: D86C0380 1200007D
	ds_read_b32 v19, v125 offset:960                           // 00000000F870: D86C03C0 1300007D
	s_waitcnt lgkmcnt(0)                                       // 00000000F878: BF8CC07F
	s_barrier                                                  // 00000000F87C: BF8A0000
	v_max3_f32 v118, |v4|, |v5|, v118                          // 00000000F880: D1D30376 05DA0B04
	v_max3_f32 v118, |v6|, |v7|, v118                          // 00000000F888: D1D30376 05DA0F06
	v_max3_f32 v118, |v8|, |v9|, v118                          // 00000000F890: D1D30376 05DA1308
	v_max3_f32 v118, |v10|, |v11|, v118                        // 00000000F898: D1D30376 05DA170A
	v_max3_f32 v118, |v12|, |v13|, v118                        // 00000000F8A0: D1D30376 05DA1B0C
	v_max3_f32 v118, |v14|, |v15|, v118                        // 00000000F8A8: D1D30376 05DA1F0E
	v_max3_f32 v118, |v16|, |v17|, v118                        // 00000000F8B0: D1D30376 05DA2310
	v_max3_f32 v118, |v18|, |v19|, v118                        // 00000000F8B8: D1D30376 05DA2712
	v_rcp_f32_e32 v118, v118                                   // 00000000F8C0: 7EEC4576
	v_mov_b32_e32 v4, 0x43700000                               // 00000000F8C4: 7E0802FF 43700000
	v_mul_f32_e32 v118, v4, v118                               // 00000000F8CC: 0AECED04
	v_mov_b32_e32 v4, v118                                     // 00000000F8D0: 7E080376
	v_mov_b32_e32 v5, v4                                       // 00000000F8D4: 7E0A0304
	v_pk_mul_f32 v[68:69], v[4:5], v[68:69]                    // 00000000F8D8: D3B14044 18028904
	v_pk_mul_f32 v[70:71], v[4:5], v[70:71]                    // 00000000F8E0: D3B14046 18028D04
	v_cvt_pk_fp8_f32 v68, v68, v69                             // 00000000F8E8: D2A20044 00028B44
	v_cvt_pk_fp8_f32 v68, v70, v71 op_sel:[0,0,1]              // 00000000F8F0: D2A24044 00028F46
	v_pk_mul_f32 v[76:77], v[4:5], v[76:77]                    // 00000000F8F8: D3B1404C 18029904
	v_pk_mul_f32 v[78:79], v[4:5], v[78:79]                    // 00000000F900: D3B1404E 18029D04
	v_cvt_pk_fp8_f32 v76, v76, v77                             // 00000000F908: D2A2004C 00029B4C
	v_cvt_pk_fp8_f32 v76, v78, v79 op_sel:[0,0,1]              // 00000000F910: D2A2404C 00029F4E
	v_rcp_f32_e32 v118, v118                                   // 00000000F918: 7EEC4576
	v_mov_b32_e32 v120, 0x358637bd                             // 00000000F91C: 7EF002FF 358637BD
	v_max3_f32 v120, |v84|, |v85|, v120                        // 00000000F924: D1D30378 05E2AB54
	v_max3_f32 v120, |v86|, |v87|, v120                        // 00000000F92C: D1D30378 05E2AF56
	v_max3_f32 v120, |v92|, |v93|, v120                        // 00000000F934: D1D30378 05E2BB5C
	v_max3_f32 v120, |v94|, |v95|, v120                        // 00000000F93C: D1D30378 05E2BF5E
	ds_write_b32 v124, v120                                    // 00000000F944: D81A0000 0000787C
	s_waitcnt lgkmcnt(0)                                       // 00000000F94C: BF8CC07F
	s_barrier                                                  // 00000000F950: BF8A0000
	ds_read_b32 v4, v125                                       // 00000000F954: D86C0000 0400007D
	ds_read_b32 v5, v125 offset:64                             // 00000000F95C: D86C0040 0500007D
	ds_read_b32 v6, v125 offset:128                            // 00000000F964: D86C0080 0600007D
	ds_read_b32 v7, v125 offset:192                            // 00000000F96C: D86C00C0 0700007D
	ds_read_b32 v8, v125 offset:256                            // 00000000F974: D86C0100 0800007D
	ds_read_b32 v9, v125 offset:320                            // 00000000F97C: D86C0140 0900007D
	ds_read_b32 v10, v125 offset:384                           // 00000000F984: D86C0180 0A00007D
	ds_read_b32 v11, v125 offset:448                           // 00000000F98C: D86C01C0 0B00007D
	ds_read_b32 v12, v125 offset:512                           // 00000000F994: D86C0200 0C00007D
	ds_read_b32 v13, v125 offset:576                           // 00000000F99C: D86C0240 0D00007D
	ds_read_b32 v14, v125 offset:640                           // 00000000F9A4: D86C0280 0E00007D
	ds_read_b32 v15, v125 offset:704                           // 00000000F9AC: D86C02C0 0F00007D
	ds_read_b32 v16, v125 offset:768                           // 00000000F9B4: D86C0300 1000007D
	ds_read_b32 v17, v125 offset:832                           // 00000000F9BC: D86C0340 1100007D
	ds_read_b32 v18, v125 offset:896                           // 00000000F9C4: D86C0380 1200007D
	ds_read_b32 v19, v125 offset:960                           // 00000000F9CC: D86C03C0 1300007D
	s_waitcnt lgkmcnt(0)                                       // 00000000F9D4: BF8CC07F
	s_barrier                                                  // 00000000F9D8: BF8A0000
	v_max3_f32 v120, |v4|, |v5|, v120                          // 00000000F9DC: D1D30378 05E20B04
	v_max3_f32 v120, |v6|, |v7|, v120                          // 00000000F9E4: D1D30378 05E20F06
	v_max3_f32 v120, |v8|, |v9|, v120                          // 00000000F9EC: D1D30378 05E21308
	v_max3_f32 v120, |v10|, |v11|, v120                        // 00000000F9F4: D1D30378 05E2170A
	v_max3_f32 v120, |v12|, |v13|, v120                        // 00000000F9FC: D1D30378 05E21B0C
	v_max3_f32 v120, |v14|, |v15|, v120                        // 00000000FA04: D1D30378 05E21F0E
	v_max3_f32 v120, |v16|, |v17|, v120                        // 00000000FA0C: D1D30378 05E22310
	v_max3_f32 v120, |v18|, |v19|, v120                        // 00000000FA14: D1D30378 05E22712
	v_rcp_f32_e32 v120, v120                                   // 00000000FA1C: 7EF04578
	v_mov_b32_e32 v4, 0x43700000                               // 00000000FA20: 7E0802FF 43700000
	v_mul_f32_e32 v120, v4, v120                               // 00000000FA28: 0AF0F104
	v_mov_b32_e32 v4, v120                                     // 00000000FA2C: 7E080378
	v_mov_b32_e32 v5, v4                                       // 00000000FA30: 7E0A0304
	v_pk_mul_f32 v[84:85], v[4:5], v[84:85]                    // 00000000FA34: D3B14054 1802A904
	v_pk_mul_f32 v[86:87], v[4:5], v[86:87]                    // 00000000FA3C: D3B14056 1802AD04
	v_cvt_pk_fp8_f32 v84, v84, v85                             // 00000000FA44: D2A20054 0002AB54
	v_cvt_pk_fp8_f32 v84, v86, v87 op_sel:[0,0,1]              // 00000000FA4C: D2A24054 0002AF56
	v_pk_mul_f32 v[92:93], v[4:5], v[92:93]                    // 00000000FA54: D3B1405C 1802B904
	v_pk_mul_f32 v[94:95], v[4:5], v[94:95]                    // 00000000FA5C: D3B1405E 1802BD04
	v_cvt_pk_fp8_f32 v92, v92, v93                             // 00000000FA64: D2A2005C 0002BB5C
	v_cvt_pk_fp8_f32 v92, v94, v95 op_sel:[0,0,1]              // 00000000FA6C: D2A2405C 0002BF5E
	v_rcp_f32_e32 v120, v120                                   // 00000000FA74: 7EF04578
	v_mov_b32_e32 v122, 0x358637bd                             // 00000000FA78: 7EF402FF 358637BD
	v_max3_f32 v122, |v100|, |v101|, v122                      // 00000000FA80: D1D3037A 05EACB64
	v_max3_f32 v122, |v102|, |v103|, v122                      // 00000000FA88: D1D3037A 05EACF66
	v_max3_f32 v122, |v108|, |v109|, v122                      // 00000000FA90: D1D3037A 05EADB6C
	v_max3_f32 v122, |v110|, |v111|, v122                      // 00000000FA98: D1D3037A 05EADF6E
	ds_write_b32 v124, v122                                    // 00000000FAA0: D81A0000 00007A7C
	s_waitcnt lgkmcnt(0)                                       // 00000000FAA8: BF8CC07F
	s_barrier                                                  // 00000000FAAC: BF8A0000
	ds_read_b32 v4, v125                                       // 00000000FAB0: D86C0000 0400007D
	ds_read_b32 v5, v125 offset:64                             // 00000000FAB8: D86C0040 0500007D
	ds_read_b32 v6, v125 offset:128                            // 00000000FAC0: D86C0080 0600007D
	ds_read_b32 v7, v125 offset:192                            // 00000000FAC8: D86C00C0 0700007D
	ds_read_b32 v8, v125 offset:256                            // 00000000FAD0: D86C0100 0800007D
	ds_read_b32 v9, v125 offset:320                            // 00000000FAD8: D86C0140 0900007D
	ds_read_b32 v10, v125 offset:384                           // 00000000FAE0: D86C0180 0A00007D
	ds_read_b32 v11, v125 offset:448                           // 00000000FAE8: D86C01C0 0B00007D
	ds_read_b32 v12, v125 offset:512                           // 00000000FAF0: D86C0200 0C00007D
	ds_read_b32 v13, v125 offset:576                           // 00000000FAF8: D86C0240 0D00007D
	ds_read_b32 v14, v125 offset:640                           // 00000000FB00: D86C0280 0E00007D
	ds_read_b32 v15, v125 offset:704                           // 00000000FB08: D86C02C0 0F00007D
	ds_read_b32 v16, v125 offset:768                           // 00000000FB10: D86C0300 1000007D
	ds_read_b32 v17, v125 offset:832                           // 00000000FB18: D86C0340 1100007D
	ds_read_b32 v18, v125 offset:896                           // 00000000FB20: D86C0380 1200007D
	ds_read_b32 v19, v125 offset:960                           // 00000000FB28: D86C03C0 1300007D
	s_waitcnt lgkmcnt(0)                                       // 00000000FB30: BF8CC07F
	s_barrier                                                  // 00000000FB34: BF8A0000
	v_max3_f32 v122, |v4|, |v5|, v122                          // 00000000FB38: D1D3037A 05EA0B04
	v_max3_f32 v122, |v6|, |v7|, v122                          // 00000000FB40: D1D3037A 05EA0F06
	v_max3_f32 v122, |v8|, |v9|, v122                          // 00000000FB48: D1D3037A 05EA1308
	v_max3_f32 v122, |v10|, |v11|, v122                        // 00000000FB50: D1D3037A 05EA170A
	v_max3_f32 v122, |v12|, |v13|, v122                        // 00000000FB58: D1D3037A 05EA1B0C
	v_max3_f32 v122, |v14|, |v15|, v122                        // 00000000FB60: D1D3037A 05EA1F0E
	v_max3_f32 v122, |v16|, |v17|, v122                        // 00000000FB68: D1D3037A 05EA2310
	v_max3_f32 v122, |v18|, |v19|, v122                        // 00000000FB70: D1D3037A 05EA2712
	v_rcp_f32_e32 v122, v122                                   // 00000000FB78: 7EF4457A
	v_mov_b32_e32 v4, 0x43700000                               // 00000000FB7C: 7E0802FF 43700000
	v_mul_f32_e32 v122, v4, v122                               // 00000000FB84: 0AF4F504
	v_mov_b32_e32 v4, v122                                     // 00000000FB88: 7E08037A
	v_mov_b32_e32 v5, v4                                       // 00000000FB8C: 7E0A0304
	v_pk_mul_f32 v[100:101], v[4:5], v[100:101]                // 00000000FB90: D3B14064 1802C904
	v_pk_mul_f32 v[102:103], v[4:5], v[102:103]                // 00000000FB98: D3B14066 1802CD04
	v_cvt_pk_fp8_f32 v100, v100, v101                          // 00000000FBA0: D2A20064 0002CB64
	v_cvt_pk_fp8_f32 v100, v102, v103 op_sel:[0,0,1]           // 00000000FBA8: D2A24064 0002CF66
	v_pk_mul_f32 v[108:109], v[4:5], v[108:109]                // 00000000FBB0: D3B1406C 1802D904
	v_pk_mul_f32 v[110:111], v[4:5], v[110:111]                // 00000000FBB8: D3B1406E 1802DD04
	v_cvt_pk_fp8_f32 v108, v108, v109                          // 00000000FBC0: D2A2006C 0002DB6C
	v_cvt_pk_fp8_f32 v108, v110, v111 op_sel:[0,0,1]           // 00000000FBC8: D2A2406C 0002DF6E
	v_rcp_f32_e32 v122, v122                                   // 00000000FBD0: 7EF4457A
	v_mov_b32_e32 v117, 0x358637bd                             // 00000000FBD4: 7EEA02FF 358637BD
	v_max3_f32 v117, |v56|, |v57|, v117                        // 00000000FBDC: D1D30375 05D67338
	v_max3_f32 v117, |v58|, |v59|, v117                        // 00000000FBE4: D1D30375 05D6773A
	v_max3_f32 v117, |v64|, |v65|, v117                        // 00000000FBEC: D1D30375 05D68340
	v_max3_f32 v117, |v66|, |v67|, v117                        // 00000000FBF4: D1D30375 05D68742
	ds_write_b32 v124, v117                                    // 00000000FBFC: D81A0000 0000757C
	s_waitcnt lgkmcnt(0)                                       // 00000000FC04: BF8CC07F
	s_barrier                                                  // 00000000FC08: BF8A0000
	ds_read_b32 v4, v125                                       // 00000000FC0C: D86C0000 0400007D
	ds_read_b32 v5, v125 offset:64                             // 00000000FC14: D86C0040 0500007D
	ds_read_b32 v6, v125 offset:128                            // 00000000FC1C: D86C0080 0600007D
	ds_read_b32 v7, v125 offset:192                            // 00000000FC24: D86C00C0 0700007D
	ds_read_b32 v8, v125 offset:256                            // 00000000FC2C: D86C0100 0800007D
	ds_read_b32 v9, v125 offset:320                            // 00000000FC34: D86C0140 0900007D
	ds_read_b32 v10, v125 offset:384                           // 00000000FC3C: D86C0180 0A00007D
	ds_read_b32 v11, v125 offset:448                           // 00000000FC44: D86C01C0 0B00007D
	ds_read_b32 v12, v125 offset:512                           // 00000000FC4C: D86C0200 0C00007D
	ds_read_b32 v13, v125 offset:576                           // 00000000FC54: D86C0240 0D00007D
	ds_read_b32 v14, v125 offset:640                           // 00000000FC5C: D86C0280 0E00007D
	ds_read_b32 v15, v125 offset:704                           // 00000000FC64: D86C02C0 0F00007D
	ds_read_b32 v16, v125 offset:768                           // 00000000FC6C: D86C0300 1000007D
	ds_read_b32 v17, v125 offset:832                           // 00000000FC74: D86C0340 1100007D
	ds_read_b32 v18, v125 offset:896                           // 00000000FC7C: D86C0380 1200007D
	ds_read_b32 v19, v125 offset:960                           // 00000000FC84: D86C03C0 1300007D
	s_waitcnt lgkmcnt(0)                                       // 00000000FC8C: BF8CC07F
	s_barrier                                                  // 00000000FC90: BF8A0000
	v_max3_f32 v117, |v4|, |v5|, v117                          // 00000000FC94: D1D30375 05D60B04
	v_max3_f32 v117, |v6|, |v7|, v117                          // 00000000FC9C: D1D30375 05D60F06
	v_max3_f32 v117, |v8|, |v9|, v117                          // 00000000FCA4: D1D30375 05D61308
	v_max3_f32 v117, |v10|, |v11|, v117                        // 00000000FCAC: D1D30375 05D6170A
	v_max3_f32 v117, |v12|, |v13|, v117                        // 00000000FCB4: D1D30375 05D61B0C
	v_max3_f32 v117, |v14|, |v15|, v117                        // 00000000FCBC: D1D30375 05D61F0E
	v_max3_f32 v117, |v16|, |v17|, v117                        // 00000000FCC4: D1D30375 05D62310
	v_max3_f32 v117, |v18|, |v19|, v117                        // 00000000FCCC: D1D30375 05D62712
	v_rcp_f32_e32 v117, v117                                   // 00000000FCD4: 7EEA4575
	v_mov_b32_e32 v4, 0x43700000                               // 00000000FCD8: 7E0802FF 43700000
	v_mul_f32_e32 v117, v4, v117                               // 00000000FCE0: 0AEAEB04
	v_mov_b32_e32 v4, v117                                     // 00000000FCE4: 7E080375
	v_mov_b32_e32 v5, v4                                       // 00000000FCE8: 7E0A0304
	v_pk_mul_f32 v[56:57], v[4:5], v[56:57]                    // 00000000FCEC: D3B14038 18027104
	v_pk_mul_f32 v[58:59], v[4:5], v[58:59]                    // 00000000FCF4: D3B1403A 18027504
	v_cvt_pk_fp8_f32 v56, v56, v57                             // 00000000FCFC: D2A20038 00027338
	v_cvt_pk_fp8_f32 v56, v58, v59 op_sel:[0,0,1]              // 00000000FD04: D2A24038 0002773A
	v_pk_mul_f32 v[64:65], v[4:5], v[64:65]                    // 00000000FD0C: D3B14040 18028104
	v_pk_mul_f32 v[66:67], v[4:5], v[66:67]                    // 00000000FD14: D3B14042 18028504
	v_cvt_pk_fp8_f32 v64, v64, v65                             // 00000000FD1C: D2A20040 00028340
	v_cvt_pk_fp8_f32 v64, v66, v67 op_sel:[0,0,1]              // 00000000FD24: D2A24040 00028742
	v_rcp_f32_e32 v117, v117                                   // 00000000FD2C: 7EEA4575
	v_mov_b32_e32 v119, 0x358637bd                             // 00000000FD30: 7EEE02FF 358637BD
	v_max3_f32 v119, |v72|, |v73|, v119                        // 00000000FD38: D1D30377 05DE9348
	v_max3_f32 v119, |v74|, |v75|, v119                        // 00000000FD40: D1D30377 05DE974A
	v_max3_f32 v119, |v80|, |v81|, v119                        // 00000000FD48: D1D30377 05DEA350
	v_max3_f32 v119, |v82|, |v83|, v119                        // 00000000FD50: D1D30377 05DEA752
	ds_write_b32 v124, v119                                    // 00000000FD58: D81A0000 0000777C
	s_waitcnt lgkmcnt(0)                                       // 00000000FD60: BF8CC07F
	s_barrier                                                  // 00000000FD64: BF8A0000
	ds_read_b32 v4, v125                                       // 00000000FD68: D86C0000 0400007D
	ds_read_b32 v5, v125 offset:64                             // 00000000FD70: D86C0040 0500007D
	ds_read_b32 v6, v125 offset:128                            // 00000000FD78: D86C0080 0600007D
	ds_read_b32 v7, v125 offset:192                            // 00000000FD80: D86C00C0 0700007D
	ds_read_b32 v8, v125 offset:256                            // 00000000FD88: D86C0100 0800007D
	ds_read_b32 v9, v125 offset:320                            // 00000000FD90: D86C0140 0900007D
	ds_read_b32 v10, v125 offset:384                           // 00000000FD98: D86C0180 0A00007D
	ds_read_b32 v11, v125 offset:448                           // 00000000FDA0: D86C01C0 0B00007D
	ds_read_b32 v12, v125 offset:512                           // 00000000FDA8: D86C0200 0C00007D
	ds_read_b32 v13, v125 offset:576                           // 00000000FDB0: D86C0240 0D00007D
	ds_read_b32 v14, v125 offset:640                           // 00000000FDB8: D86C0280 0E00007D
	ds_read_b32 v15, v125 offset:704                           // 00000000FDC0: D86C02C0 0F00007D
	ds_read_b32 v16, v125 offset:768                           // 00000000FDC8: D86C0300 1000007D
	ds_read_b32 v17, v125 offset:832                           // 00000000FDD0: D86C0340 1100007D
	ds_read_b32 v18, v125 offset:896                           // 00000000FDD8: D86C0380 1200007D
	ds_read_b32 v19, v125 offset:960                           // 00000000FDE0: D86C03C0 1300007D
	s_waitcnt lgkmcnt(0)                                       // 00000000FDE8: BF8CC07F
	s_barrier                                                  // 00000000FDEC: BF8A0000
	v_max3_f32 v119, |v4|, |v5|, v119                          // 00000000FDF0: D1D30377 05DE0B04
	v_max3_f32 v119, |v6|, |v7|, v119                          // 00000000FDF8: D1D30377 05DE0F06
	v_max3_f32 v119, |v8|, |v9|, v119                          // 00000000FE00: D1D30377 05DE1308
	v_max3_f32 v119, |v10|, |v11|, v119                        // 00000000FE08: D1D30377 05DE170A
	v_max3_f32 v119, |v12|, |v13|, v119                        // 00000000FE10: D1D30377 05DE1B0C
	v_max3_f32 v119, |v14|, |v15|, v119                        // 00000000FE18: D1D30377 05DE1F0E
	v_max3_f32 v119, |v16|, |v17|, v119                        // 00000000FE20: D1D30377 05DE2310
	v_max3_f32 v119, |v18|, |v19|, v119                        // 00000000FE28: D1D30377 05DE2712
	v_rcp_f32_e32 v119, v119                                   // 00000000FE30: 7EEE4577
	v_mov_b32_e32 v4, 0x43700000                               // 00000000FE34: 7E0802FF 43700000
	v_mul_f32_e32 v119, v4, v119                               // 00000000FE3C: 0AEEEF04
	v_mov_b32_e32 v4, v119                                     // 00000000FE40: 7E080377
	v_mov_b32_e32 v5, v4                                       // 00000000FE44: 7E0A0304
	v_pk_mul_f32 v[72:73], v[4:5], v[72:73]                    // 00000000FE48: D3B14048 18029104
	v_pk_mul_f32 v[74:75], v[4:5], v[74:75]                    // 00000000FE50: D3B1404A 18029504
	v_cvt_pk_fp8_f32 v72, v72, v73                             // 00000000FE58: D2A20048 00029348
	v_cvt_pk_fp8_f32 v72, v74, v75 op_sel:[0,0,1]              // 00000000FE60: D2A24048 0002974A
	v_pk_mul_f32 v[80:81], v[4:5], v[80:81]                    // 00000000FE68: D3B14050 1802A104
	v_pk_mul_f32 v[82:83], v[4:5], v[82:83]                    // 00000000FE70: D3B14052 1802A504
	v_cvt_pk_fp8_f32 v80, v80, v81                             // 00000000FE78: D2A20050 0002A350
	v_cvt_pk_fp8_f32 v80, v82, v83 op_sel:[0,0,1]              // 00000000FE80: D2A24050 0002A752
	v_rcp_f32_e32 v119, v119                                   // 00000000FE88: 7EEE4577
	v_mov_b32_e32 v121, 0x358637bd                             // 00000000FE8C: 7EF202FF 358637BD
	v_max3_f32 v121, |v88|, |v89|, v121                        // 00000000FE94: D1D30379 05E6B358
	v_max3_f32 v121, |v90|, |v91|, v121                        // 00000000FE9C: D1D30379 05E6B75A
	v_max3_f32 v121, |v96|, |v97|, v121                        // 00000000FEA4: D1D30379 05E6C360
	v_max3_f32 v121, |v98|, |v99|, v121                        // 00000000FEAC: D1D30379 05E6C762
	ds_write_b32 v124, v121                                    // 00000000FEB4: D81A0000 0000797C
	s_waitcnt lgkmcnt(0)                                       // 00000000FEBC: BF8CC07F
	s_barrier                                                  // 00000000FEC0: BF8A0000
	ds_read_b32 v4, v125                                       // 00000000FEC4: D86C0000 0400007D
	ds_read_b32 v5, v125 offset:64                             // 00000000FECC: D86C0040 0500007D
	ds_read_b32 v6, v125 offset:128                            // 00000000FED4: D86C0080 0600007D
	ds_read_b32 v7, v125 offset:192                            // 00000000FEDC: D86C00C0 0700007D
	ds_read_b32 v8, v125 offset:256                            // 00000000FEE4: D86C0100 0800007D
	ds_read_b32 v9, v125 offset:320                            // 00000000FEEC: D86C0140 0900007D
	ds_read_b32 v10, v125 offset:384                           // 00000000FEF4: D86C0180 0A00007D
	ds_read_b32 v11, v125 offset:448                           // 00000000FEFC: D86C01C0 0B00007D
	ds_read_b32 v12, v125 offset:512                           // 00000000FF04: D86C0200 0C00007D
	ds_read_b32 v13, v125 offset:576                           // 00000000FF0C: D86C0240 0D00007D
	ds_read_b32 v14, v125 offset:640                           // 00000000FF14: D86C0280 0E00007D
	ds_read_b32 v15, v125 offset:704                           // 00000000FF1C: D86C02C0 0F00007D
	ds_read_b32 v16, v125 offset:768                           // 00000000FF24: D86C0300 1000007D
	ds_read_b32 v17, v125 offset:832                           // 00000000FF2C: D86C0340 1100007D
	ds_read_b32 v18, v125 offset:896                           // 00000000FF34: D86C0380 1200007D
	ds_read_b32 v19, v125 offset:960                           // 00000000FF3C: D86C03C0 1300007D
	s_waitcnt lgkmcnt(0)                                       // 00000000FF44: BF8CC07F
	s_barrier                                                  // 00000000FF48: BF8A0000
	v_max3_f32 v121, |v4|, |v5|, v121                          // 00000000FF4C: D1D30379 05E60B04
	v_max3_f32 v121, |v6|, |v7|, v121                          // 00000000FF54: D1D30379 05E60F06
	v_max3_f32 v121, |v8|, |v9|, v121                          // 00000000FF5C: D1D30379 05E61308
	v_max3_f32 v121, |v10|, |v11|, v121                        // 00000000FF64: D1D30379 05E6170A
	v_max3_f32 v121, |v12|, |v13|, v121                        // 00000000FF6C: D1D30379 05E61B0C
	v_max3_f32 v121, |v14|, |v15|, v121                        // 00000000FF74: D1D30379 05E61F0E
	v_max3_f32 v121, |v16|, |v17|, v121                        // 00000000FF7C: D1D30379 05E62310
	v_max3_f32 v121, |v18|, |v19|, v121                        // 00000000FF84: D1D30379 05E62712
	v_rcp_f32_e32 v121, v121                                   // 00000000FF8C: 7EF24579
	v_mov_b32_e32 v4, 0x43700000                               // 00000000FF90: 7E0802FF 43700000
	v_mul_f32_e32 v121, v4, v121                               // 00000000FF98: 0AF2F304
	v_mov_b32_e32 v4, v121                                     // 00000000FF9C: 7E080379
	v_mov_b32_e32 v5, v4                                       // 00000000FFA0: 7E0A0304
	v_pk_mul_f32 v[88:89], v[4:5], v[88:89]                    // 00000000FFA4: D3B14058 1802B104
	v_pk_mul_f32 v[90:91], v[4:5], v[90:91]                    // 00000000FFAC: D3B1405A 1802B504
	v_cvt_pk_fp8_f32 v88, v88, v89                             // 00000000FFB4: D2A20058 0002B358
	v_cvt_pk_fp8_f32 v88, v90, v91 op_sel:[0,0,1]              // 00000000FFBC: D2A24058 0002B75A
	v_pk_mul_f32 v[96:97], v[4:5], v[96:97]                    // 00000000FFC4: D3B14060 1802C104
	v_pk_mul_f32 v[98:99], v[4:5], v[98:99]                    // 00000000FFCC: D3B14062 1802C504
	v_cvt_pk_fp8_f32 v96, v96, v97                             // 00000000FFD4: D2A20060 0002C360
	v_cvt_pk_fp8_f32 v96, v98, v99 op_sel:[0,0,1]              // 00000000FFDC: D2A24060 0002C762
	v_rcp_f32_e32 v121, v121                                   // 00000000FFE4: 7EF24579
	v_mov_b32_e32 v123, 0x358637bd                             // 00000000FFE8: 7EF602FF 358637BD
	v_max3_f32 v123, |v104|, |v105|, v123                      // 00000000FFF0: D1D3037B 05EED368
	v_max3_f32 v123, |v106|, |v107|, v123                      // 00000000FFF8: D1D3037B 05EED76A
	v_max3_f32 v123, |v112|, |v113|, v123                      // 000000010000: D1D3037B 05EEE370
	v_max3_f32 v123, |v114|, |v115|, v123                      // 000000010008: D1D3037B 05EEE772
	ds_write_b32 v124, v123                                    // 000000010010: D81A0000 00007B7C
	s_waitcnt lgkmcnt(0)                                       // 000000010018: BF8CC07F
	s_barrier                                                  // 00000001001C: BF8A0000
	ds_read_b32 v4, v125                                       // 000000010020: D86C0000 0400007D
	ds_read_b32 v5, v125 offset:64                             // 000000010028: D86C0040 0500007D
	ds_read_b32 v6, v125 offset:128                            // 000000010030: D86C0080 0600007D
	ds_read_b32 v7, v125 offset:192                            // 000000010038: D86C00C0 0700007D
	ds_read_b32 v8, v125 offset:256                            // 000000010040: D86C0100 0800007D
	ds_read_b32 v9, v125 offset:320                            // 000000010048: D86C0140 0900007D
	ds_read_b32 v10, v125 offset:384                           // 000000010050: D86C0180 0A00007D
	ds_read_b32 v11, v125 offset:448                           // 000000010058: D86C01C0 0B00007D
	ds_read_b32 v12, v125 offset:512                           // 000000010060: D86C0200 0C00007D
	ds_read_b32 v13, v125 offset:576                           // 000000010068: D86C0240 0D00007D
	ds_read_b32 v14, v125 offset:640                           // 000000010070: D86C0280 0E00007D
	ds_read_b32 v15, v125 offset:704                           // 000000010078: D86C02C0 0F00007D
	ds_read_b32 v16, v125 offset:768                           // 000000010080: D86C0300 1000007D
	ds_read_b32 v17, v125 offset:832                           // 000000010088: D86C0340 1100007D
	ds_read_b32 v18, v125 offset:896                           // 000000010090: D86C0380 1200007D
	ds_read_b32 v19, v125 offset:960                           // 000000010098: D86C03C0 1300007D
	s_waitcnt lgkmcnt(0)                                       // 0000000100A0: BF8CC07F
	s_barrier                                                  // 0000000100A4: BF8A0000
	v_max3_f32 v123, |v4|, |v5|, v123                          // 0000000100A8: D1D3037B 05EE0B04
	v_max3_f32 v123, |v6|, |v7|, v123                          // 0000000100B0: D1D3037B 05EE0F06
	v_max3_f32 v123, |v8|, |v9|, v123                          // 0000000100B8: D1D3037B 05EE1308
	v_max3_f32 v123, |v10|, |v11|, v123                        // 0000000100C0: D1D3037B 05EE170A
	v_max3_f32 v123, |v12|, |v13|, v123                        // 0000000100C8: D1D3037B 05EE1B0C
	v_max3_f32 v123, |v14|, |v15|, v123                        // 0000000100D0: D1D3037B 05EE1F0E
	v_max3_f32 v123, |v16|, |v17|, v123                        // 0000000100D8: D1D3037B 05EE2310
	v_max3_f32 v123, |v18|, |v19|, v123                        // 0000000100E0: D1D3037B 05EE2712
	v_rcp_f32_e32 v123, v123                                   // 0000000100E8: 7EF6457B
	v_mov_b32_e32 v4, 0x43700000                               // 0000000100EC: 7E0802FF 43700000
	v_mul_f32_e32 v123, v4, v123                               // 0000000100F4: 0AF6F704
	v_mov_b32_e32 v4, v123                                     // 0000000100F8: 7E08037B
	v_mov_b32_e32 v5, v4                                       // 0000000100FC: 7E0A0304
	v_pk_mul_f32 v[104:105], v[4:5], v[104:105]                // 000000010100: D3B14068 1802D104
	v_pk_mul_f32 v[106:107], v[4:5], v[106:107]                // 000000010108: D3B1406A 1802D504
	v_cvt_pk_fp8_f32 v104, v104, v105                          // 000000010110: D2A20068 0002D368
	v_cvt_pk_fp8_f32 v104, v106, v107 op_sel:[0,0,1]           // 000000010118: D2A24068 0002D76A
	v_pk_mul_f32 v[112:113], v[4:5], v[112:113]                // 000000010120: D3B14070 1802E104
	v_pk_mul_f32 v[114:115], v[4:5], v[114:115]                // 000000010128: D3B14072 1802E504
	v_cvt_pk_fp8_f32 v112, v112, v113                          // 000000010130: D2A20070 0002E370
	v_cvt_pk_fp8_f32 v112, v114, v115 op_sel:[0,0,1]           // 000000010138: D2A24070 0002E772
	v_rcp_f32_e32 v123, v123                                   // 000000010140: 7EF6457B
	v_lshrrev_b32_e32 v4, 5, v0                                // 000000010144: 20080085
	v_mul_lo_u32 v20, 34, v4                                   // 000000010148: D2850014 000208A2
	v_and_b32_e32 v4, 31, v0                                   // 000000010150: 2608009F
	v_lshrrev_b32_e32 v5, 4, v4                                // 000000010154: 200A0884
	v_add_u32_e32 v20, v5, v20                                 // 000000010158: 68282905
	v_and_b32_e32 v4, 15, v0                                   // 00000001015C: 2608008F
	v_mul_lo_u32 v5, 2, v4                                     // 000000010160: D2850005 00020882
	v_add_u32_e32 v20, v5, v20                                 // 000000010168: 68282905
	s_mul_i32 s60, s7, 0x44                                    // 00000001016C: 923CFF07 00000044
	v_add_u32_e32 v20, s60, v20                                // 000000010174: 6828283C
	v_lshlrev_b32_e32 v20, 2, v20                              // 000000010178: 24282882
	ds_write_b32 v20, v52                                      // 00000001017C: D81A0000 00003414
	ds_write_b32 v20, v56 offset:8704                          // 000000010184: D81A2200 00003814
	ds_write_b32 v20, v60 offset:1088                          // 00000001018C: D81A0440 00003C14
	ds_write_b32 v20, v64 offset:9792                          // 000000010194: D81A2640 00004014
	ds_write_b32 v20, v68 offset:2176                          // 00000001019C: D81A0880 00004414
	ds_write_b32 v20, v72 offset:10880                         // 0000000101A4: D81A2A80 00004814
	ds_write_b32 v20, v76 offset:3264                          // 0000000101AC: D81A0CC0 00004C14
	ds_write_b32 v20, v80 offset:11968                         // 0000000101B4: D81A2EC0 00005014
	ds_write_b32 v20, v84 offset:4352                          // 0000000101BC: D81A1100 00005414
	ds_write_b32 v20, v88 offset:13056                         // 0000000101C4: D81A3300 00005814
	ds_write_b32 v20, v92 offset:5440                          // 0000000101CC: D81A1540 00005C14
	ds_write_b32 v20, v96 offset:14144                         // 0000000101D4: D81A3740 00006014
	ds_write_b32 v20, v100 offset:6528                         // 0000000101DC: D81A1980 00006414
	ds_write_b32 v20, v104 offset:15232                        // 0000000101E4: D81A3B80 00006814
	ds_write_b32 v20, v108 offset:7616                         // 0000000101EC: D81A1DC0 00006C14
	ds_write_b32 v20, v112 offset:16320                        // 0000000101F4: D81A3FC0 00007014
	v_lshrrev_b32_e32 v4, 5, v0                                // 0000000101FC: 20080085
	v_xor_b32_e32 v5, 1, v4                                    // 000000010200: 2A0A0881
	s_mul_i32 s60, s65, 1                                      // 000000010204: 923C8141
	s_cmp_eq_u32 s88, 0                                        // 000000010208: BF068058
	s_cselect_b32 s61, 1, 8                                    // 00000001020C: 853D8881
	s_mul_i32 s60, s61, s60                                    // 000000010210: 923C3C3D
	v_readlane_b32 s82, v3, 0                                  // 000000010214: D2890052 00010103
	s_lshr_b32 s61, s82, 24                                    // 00000001021C: 8F3D9852
	s_and_b32 s82, s82, 0xffffff                               // 000000010220: 8652FF52 00FFFFFF
	s_mul_i32 s82, s82, s71                                    // 000000010228: 92524752
	s_mul_i32 s61, s60, s61                                    // 00000001022C: 923D3D3C
	s_add_u32 s82, s82, s61                                    // 000000010230: 80523D52
	v_mul_lo_u32 v6, v5, s82                                   // 000000010234: D2850006 0000A505
	v_readlane_b32 s82, v3, 1                                  // 00000001023C: D2890052 00010303
	s_lshr_b32 s61, s82, 24                                    // 000000010244: 8F3D9852
	s_and_b32 s82, s82, 0xffffff                               // 000000010248: 8652FF52 00FFFFFF
	s_mul_i32 s82, s82, s71                                    // 000000010250: 92524752
	s_mul_i32 s61, s60, s61                                    // 000000010254: 923D3D3C
	s_add_u32 s82, s82, s61                                    // 000000010258: 80523D52
	v_mul_lo_u32 v7, v4, s82                                   // 00000001025C: D2850007 0000A504
	v_add_u32_e32 v38, v6, v7                                  // 000000010264: 684C0F06
	v_readlane_b32 s82, v3, 2                                  // 000000010268: D2890052 00010503
	s_lshr_b32 s61, s82, 24                                    // 000000010270: 8F3D9852
	s_and_b32 s82, s82, 0xffffff                               // 000000010274: 8652FF52 00FFFFFF
	s_mul_i32 s82, s82, s71                                    // 00000001027C: 92524752
	s_mul_i32 s61, s60, s61                                    // 000000010280: 923D3D3C
	s_add_u32 s82, s82, s61                                    // 000000010284: 80523D52
	v_mul_lo_u32 v6, v5, s82                                   // 000000010288: D2850006 0000A505
	v_readlane_b32 s82, v3, 3                                  // 000000010290: D2890052 00010703
	s_lshr_b32 s61, s82, 24                                    // 000000010298: 8F3D9852
	s_and_b32 s82, s82, 0xffffff                               // 00000001029C: 8652FF52 00FFFFFF
	s_mul_i32 s82, s82, s71                                    // 0000000102A4: 92524752
	s_mul_i32 s61, s60, s61                                    // 0000000102A8: 923D3D3C
	s_add_u32 s82, s82, s61                                    // 0000000102AC: 80523D52
	v_mul_lo_u32 v7, v4, s82                                   // 0000000102B0: D2850007 0000A504
	v_add_u32_e32 v39, v6, v7                                  // 0000000102B8: 684E0F06
	v_readlane_b32 s82, v3, 4                                  // 0000000102BC: D2890052 00010903
	s_lshr_b32 s61, s82, 24                                    // 0000000102C4: 8F3D9852
	s_and_b32 s82, s82, 0xffffff                               // 0000000102C8: 8652FF52 00FFFFFF
	s_mul_i32 s82, s82, s71                                    // 0000000102D0: 92524752
	s_mul_i32 s61, s60, s61                                    // 0000000102D4: 923D3D3C
	s_add_u32 s82, s82, s61                                    // 0000000102D8: 80523D52
	v_mul_lo_u32 v6, v5, s82                                   // 0000000102DC: D2850006 0000A505
	v_readlane_b32 s82, v3, 5                                  // 0000000102E4: D2890052 00010B03
	s_lshr_b32 s61, s82, 24                                    // 0000000102EC: 8F3D9852
	s_and_b32 s82, s82, 0xffffff                               // 0000000102F0: 8652FF52 00FFFFFF
	s_mul_i32 s82, s82, s71                                    // 0000000102F8: 92524752
	s_mul_i32 s61, s60, s61                                    // 0000000102FC: 923D3D3C
	s_add_u32 s82, s82, s61                                    // 000000010300: 80523D52
	v_mul_lo_u32 v7, v4, s82                                   // 000000010304: D2850007 0000A504
	v_add_u32_e32 v40, v6, v7                                  // 00000001030C: 68500F06
	v_readlane_b32 s82, v3, 6                                  // 000000010310: D2890052 00010D03
	s_lshr_b32 s61, s82, 24                                    // 000000010318: 8F3D9852
	s_and_b32 s82, s82, 0xffffff                               // 00000001031C: 8652FF52 00FFFFFF
	s_mul_i32 s82, s82, s71                                    // 000000010324: 92524752
	s_mul_i32 s61, s60, s61                                    // 000000010328: 923D3D3C
	s_add_u32 s82, s82, s61                                    // 00000001032C: 80523D52
	v_mul_lo_u32 v6, v5, s82                                   // 000000010330: D2850006 0000A505
	v_readlane_b32 s82, v3, 7                                  // 000000010338: D2890052 00010F03
	s_lshr_b32 s61, s82, 24                                    // 000000010340: 8F3D9852
	s_and_b32 s82, s82, 0xffffff                               // 000000010344: 8652FF52 00FFFFFF
	s_mul_i32 s82, s82, s71                                    // 00000001034C: 92524752
	s_mul_i32 s61, s60, s61                                    // 000000010350: 923D3D3C
	s_add_u32 s82, s82, s61                                    // 000000010354: 80523D52
	v_mul_lo_u32 v7, v4, s82                                   // 000000010358: D2850007 0000A504
	v_add_u32_e32 v41, v6, v7                                  // 000000010360: 68520F06
	v_and_b32_e32 v4, 31, v0                                   // 000000010364: 2608009F
	v_lshrrev_b32_e32 v4, 1, v4                                // 000000010368: 20080881
	s_cmp_eq_u32 s88, 0                                        // 00000001036C: BF068058
	s_cselect_b32 s61, 2, 4                                    // 000000010370: 853D8482
	v_mul_lo_u32 v4, v4, s61                                   // 000000010374: D2850004 00007B04
	v_and_b32_e64 v5, v0, 1                                    // 00000001037C: D1130005 00010300
	v_add_u32_e32 v4, v4, v5                                   // 000000010384: 68080B04
	v_lshlrev_b32_e32 v4, 2, v4                                // 000000010388: 24080882
	v_add_u32_e32 v38, v38, v4                                 // 00000001038C: 684C0926
	v_add_u32_e32 v39, v39, v4                                 // 000000010390: 684E0927
	v_add_u32_e32 v40, v40, v4                                 // 000000010394: 68500928
	v_add_u32_e32 v41, v41, v4                                 // 000000010398: 68520929
	s_waitcnt lgkmcnt(0)                                       // 00000001039C: BF8CC07F
	s_barrier                                                  // 0000000103A0: BF8A0000
	ds_read_b32 v52, v21                                       // 0000000103A4: D86C0000 34000015
	ds_read_b32 v53, v21 offset:64                             // 0000000103AC: D86C0040 35000015
	ds_read_b32 v54, v21 offset:2176                           // 0000000103B4: D86C0880 36000015
	ds_read_b32 v55, v21 offset:2240                           // 0000000103BC: D86C08C0 37000015
	ds_read_b32 v56, v21 offset:4352                           // 0000000103C4: D86C1100 38000015
	ds_read_b32 v57, v21 offset:4416                           // 0000000103CC: D86C1140 39000015
	ds_read_b32 v58, v21 offset:6528                           // 0000000103D4: D86C1980 3A000015
	ds_read_b32 v59, v21 offset:6592                           // 0000000103DC: D86C19C0 3B000015
	ds_read_b32 v60, v21 offset:8704                           // 0000000103E4: D86C2200 3C000015
	ds_read_b32 v61, v21 offset:8768                           // 0000000103EC: D86C2240 3D000015
	ds_read_b32 v62, v21 offset:10880                          // 0000000103F4: D86C2A80 3E000015
	ds_read_b32 v63, v21 offset:10944                          // 0000000103FC: D86C2AC0 3F000015
	ds_read_b32 v64, v21 offset:13056                          // 000000010404: D86C3300 40000015
	ds_read_b32 v65, v21 offset:13120                          // 00000001040C: D86C3340 41000015
	ds_read_b32 v66, v21 offset:15232                          // 000000010414: D86C3B80 42000015
	ds_read_b32 v67, v21 offset:15296                          // 00000001041C: D86C3BC0 43000015
	s_waitcnt lgkmcnt(0)                                       // 000000010424: BF8CC07F
	s_mov_b32 s36, -1                                          // 000000010428: BEA400C1
	s_mov_b32 s37, -1                                          // 00000001042C: BEA500C1
	v_mov_b32_e32 v7, 0                                        // 000000010430: 7E0E0280
	s_or_b32 s9, s9, 0x40000                                   // 000000010434: 8709FF09 00040000
	s_mov_b64 exec, s[36:37]                                   // 00000001043C: BEFE0124
	v_mov_b32_e32 v6, v38                                      // 000000010440: 7E0C0326
	s_mov_b64 s[60:61], 0                                      // 000000010444: BEBC0180
	v_readlane_b32 s82, v3, 0                                  // 000000010448: D2890052 00010103
	s_and_b32 s82, s82, 0xffffff                               // 000000010450: 8652FF52 00FFFFFF
	s_cmp_lt_u32 s82, s66                                      // 000000010458: BF0A4252
	s_cselect_b32 s20, s36, s60                                // 00000001045C: 85143C24
	v_readlane_b32 s82, v3, 1                                  // 000000010460: D2890052 00010303
	s_and_b32 s82, s82, 0xffffff                               // 000000010468: 8652FF52 00FFFFFF
	s_cmp_lt_u32 s82, s66                                      // 000000010470: BF0A4252
	s_cselect_b32 s21, s36, s60                                // 000000010474: 85153C24
	s_mov_b64 exec, s[20:21]                                   // 000000010478: BEFE0114
	buffer_store_dword v52, v6, s[8:11], 0 offen               // 00000001047C: E0701000 80023406
	buffer_store_dword v54, v6, s[8:11], 0 offen offset:128    // 000000010484: E0701080 80023606
	buffer_store_dword v56, v6, s[8:11], 0 offen offset:256    // 00000001048C: E0701100 80023806
	buffer_store_dword v58, v6, s[8:11], 0 offen offset:384    // 000000010494: E0701180 80023A06
	s_mov_b64 exec, s[36:37]                                   // 00000001049C: BEFE0124
	v_mov_b32_e32 v6, v39                                      // 0000000104A0: 7E0C0327
	s_mov_b64 s[60:61], 0                                      // 0000000104A4: BEBC0180
	v_readlane_b32 s82, v3, 2                                  // 0000000104A8: D2890052 00010503
	s_and_b32 s82, s82, 0xffffff                               // 0000000104B0: 8652FF52 00FFFFFF
	s_cmp_lt_u32 s82, s66                                      // 0000000104B8: BF0A4252
	s_cselect_b32 s20, s36, s60                                // 0000000104BC: 85143C24
	v_readlane_b32 s82, v3, 3                                  // 0000000104C0: D2890052 00010703
	s_and_b32 s82, s82, 0xffffff                               // 0000000104C8: 8652FF52 00FFFFFF
	s_cmp_lt_u32 s82, s66                                      // 0000000104D0: BF0A4252
	s_cselect_b32 s21, s36, s60                                // 0000000104D4: 85153C24
	s_mov_b64 exec, s[20:21]                                   // 0000000104D8: BEFE0114
	buffer_store_dword v53, v6, s[8:11], 0 offen               // 0000000104DC: E0701000 80023506
	buffer_store_dword v55, v6, s[8:11], 0 offen offset:128    // 0000000104E4: E0701080 80023706
	buffer_store_dword v57, v6, s[8:11], 0 offen offset:256    // 0000000104EC: E0701100 80023906
	buffer_store_dword v59, v6, s[8:11], 0 offen offset:384    // 0000000104F4: E0701180 80023B06
	s_mov_b64 exec, s[36:37]                                   // 0000000104FC: BEFE0124
	v_mov_b32_e32 v6, v40                                      // 000000010500: 7E0C0328
	s_mov_b64 s[60:61], 0                                      // 000000010504: BEBC0180
	v_readlane_b32 s82, v3, 4                                  // 000000010508: D2890052 00010903
	s_and_b32 s82, s82, 0xffffff                               // 000000010510: 8652FF52 00FFFFFF
	s_cmp_lt_u32 s82, s66                                      // 000000010518: BF0A4252
	s_cselect_b32 s20, s36, s60                                // 00000001051C: 85143C24
	v_readlane_b32 s82, v3, 5                                  // 000000010520: D2890052 00010B03
	s_and_b32 s82, s82, 0xffffff                               // 000000010528: 8652FF52 00FFFFFF
	s_cmp_lt_u32 s82, s66                                      // 000000010530: BF0A4252
	s_cselect_b32 s21, s36, s60                                // 000000010534: 85153C24
	s_mov_b64 exec, s[20:21]                                   // 000000010538: BEFE0114
	buffer_store_dword v60, v6, s[8:11], 0 offen               // 00000001053C: E0701000 80023C06
	buffer_store_dword v62, v6, s[8:11], 0 offen offset:128    // 000000010544: E0701080 80023E06
	buffer_store_dword v64, v6, s[8:11], 0 offen offset:256    // 00000001054C: E0701100 80024006
	buffer_store_dword v66, v6, s[8:11], 0 offen offset:384    // 000000010554: E0701180 80024206
	s_mov_b64 exec, s[36:37]                                   // 00000001055C: BEFE0124
	v_mov_b32_e32 v6, v41                                      // 000000010560: 7E0C0329
	s_mov_b64 s[60:61], 0                                      // 000000010564: BEBC0180
	v_readlane_b32 s82, v3, 6                                  // 000000010568: D2890052 00010D03
	s_and_b32 s82, s82, 0xffffff                               // 000000010570: 8652FF52 00FFFFFF
	s_cmp_lt_u32 s82, s66                                      // 000000010578: BF0A4252
	s_cselect_b32 s20, s36, s60                                // 00000001057C: 85143C24
	v_readlane_b32 s82, v3, 7                                  // 000000010580: D2890052 00010F03
	s_and_b32 s82, s82, 0xffffff                               // 000000010588: 8652FF52 00FFFFFF
	s_cmp_lt_u32 s82, s66                                      // 000000010590: BF0A4252
	s_cselect_b32 s21, s36, s60                                // 000000010594: 85153C24
	s_mov_b64 exec, s[20:21]                                   // 000000010598: BEFE0114
	buffer_store_dword v61, v6, s[8:11], 0 offen               // 00000001059C: E0701000 80023D06
	buffer_store_dword v63, v6, s[8:11], 0 offen offset:128    // 0000000105A4: E0701080 80023F06
	buffer_store_dword v65, v6, s[8:11], 0 offen offset:256    // 0000000105AC: E0701100 80024106
	buffer_store_dword v67, v6, s[8:11], 0 offen offset:384    // 0000000105B4: E0701180 80024306
	s_mov_b64 exec, s[36:37]                                   // 0000000105BC: BEFE0124
	s_cmp_eq_u32 s7, 0                                         // 0000000105C0: BF068007
	s_cbranch_scc0 label_3B28                                  // 0000000105C4: BF840433
	s_waitcnt vmcnt(16)                                        // 0000000105C8: BF8C4F70
	s_mov_b32 s8, s90                                          // 0000000105CC: BE88005A
	s_mov_b32 s9, s91                                          // 0000000105D0: BE89005B
	s_mul_i32 s60, s66, s71                                    // 0000000105D4: 923C4742
	s_add_u32 s8, s60, s8                                      // 0000000105D8: 8008083C
	s_addc_u32 s9, 0, s9                                       // 0000000105DC: 82090980
	s_lshr_b32 s71, s71, 5                                     // 0000000105E0: 8F478547
	s_mul_i32 s60, s66, s71                                    // 0000000105E4: 923C4742
	s_mov_b32 s10, s60                                         // 0000000105E8: BE8A003C
	s_lshr_b32 s61, s65, 5                                     // 0000000105EC: 8F3D8541
	s_mul_i32 s60, s2, 16                                      // 0000000105F0: 923C9002
	v_lshrrev_b32_e32 v4, 24, v30                              // 0000000105F4: 20083C98
	v_mul_lo_u32 v4, s61, v4                                   // 0000000105F8: D2850004 0002083D
	v_and_b32_e32 v30, 0xffffff, v30                           // 000000010600: 263C3CFF 00FFFFFF
	v_mul_lo_u32 v30, s71, v30                                 // 000000010608: D285001E 00023C47
	v_add_u32_e32 v30, v4, v30                                 // 000000010610: 683C3D04
	v_add_u32_e32 v30, s60, v30                                // 000000010614: 683C3C3C
	v_lshrrev_b32_e32 v4, 24, v31                              // 000000010618: 20083E98
	v_mul_lo_u32 v4, s61, v4                                   // 00000001061C: D2850004 0002083D
	v_and_b32_e32 v31, 0xffffff, v31                           // 000000010624: 263E3EFF 00FFFFFF
	v_mul_lo_u32 v31, s71, v31                                 // 00000001062C: D285001F 00023E47
	v_add_u32_e32 v31, v4, v31                                 // 000000010634: 683E3F04
	v_add_u32_e32 v31, s60, v31                                // 000000010638: 683E3E3C
	s_mov_b64 exec, 0xffff                                     // 00000001063C: BEFE01FF 0000FFFF
	buffer_store_dword v116, v30, s[8:11], 0 offen             // 000000010644: E0701000 8002741E
	buffer_store_dword v118, v30, s[8:11], 0 offen offset:4    // 00000001064C: E0701004 8002761E
	buffer_store_dword v120, v30, s[8:11], 0 offen offset:8    // 000000010654: E0701008 8002781E
	buffer_store_dword v122, v30, s[8:11], 0 offen offset:12   // 00000001065C: E070100C 80027A1E
	buffer_store_dword v117, v31, s[8:11], 0 offen             // 000000010664: E0701000 8002751F
	buffer_store_dword v119, v31, s[8:11], 0 offen offset:4    // 00000001066C: E0701004 8002771F
	buffer_store_dword v121, v31, s[8:11], 0 offen offset:8    // 000000010674: E0701008 8002791F
	buffer_store_dword v123, v31, s[8:11], 0 offen offset:12   // 00000001067C: E070100C 80027B1F
	s_mov_b64 exec, s[36:37]                                   // 000000010684: BEFE0124
	s_branch label_3B28                                        // 000000010688: BF820402

000000000001068c <label_3726>:
	ds_write_b64 v20, v[52:53]                                 // 00000001068C: D89A0000 00003414
	ds_write_b64 v20, v[56:57] offset:17408                    // 000000010694: D89A4400 00003814
	ds_write_b64 v20, v[60:61] offset:2176                     // 00000001069C: D89A0880 00003C14
	ds_write_b64 v20, v[64:65] offset:19584                    // 0000000106A4: D89A4C80 00004014
	ds_write_b64 v20, v[68:69] offset:4352                     // 0000000106AC: D89A1100 00004414
	ds_write_b64 v20, v[72:73] offset:21760                    // 0000000106B4: D89A5500 00004814
	ds_write_b64 v20, v[76:77] offset:6528                     // 0000000106BC: D89A1980 00004C14
	ds_write_b64 v20, v[80:81] offset:23936                    // 0000000106C4: D89A5D80 00005014
	ds_write_b64 v20, v[84:85] offset:8704                     // 0000000106CC: D89A2200 00005414
	ds_write_b64 v20, v[88:89] offset:26112                    // 0000000106D4: D89A6600 00005814
	ds_write_b64 v20, v[92:93] offset:10880                    // 0000000106DC: D89A2A80 00005C14
	ds_write_b64 v20, v[96:97] offset:28288                    // 0000000106E4: D89A6E80 00006014
	ds_write_b64 v20, v[100:101] offset:13056                  // 0000000106EC: D89A3300 00006414
	ds_write_b64 v20, v[104:105] offset:30464                  // 0000000106F4: D89A7700 00006814
	ds_write_b64 v20, v[108:109] offset:15232                  // 0000000106FC: D89A3B80 00006C14
	ds_write_b64 v20, v[112:113] offset:32640                  // 000000010704: D89A7F80 00007014
	v_lshrrev_b32_e32 v4, 5, v0                                // 00000001070C: 20080085
	v_xor_b32_e32 v5, 1, v4                                    // 000000010710: 2A0A0881
	s_mul_i32 s60, s65, 1                                      // 000000010714: 923C8141
	s_cmp_eq_u32 s88, 0                                        // 000000010718: BF068058
	s_cselect_b32 s61, 1, 8                                    // 00000001071C: 853D8881
	s_mul_i32 s60, s61, s60                                    // 000000010720: 923C3C3D
	v_readlane_b32 s82, v3, 0                                  // 000000010724: D2890052 00010103
	s_lshr_b32 s61, s82, 24                                    // 00000001072C: 8F3D9852
	s_and_b32 s82, s82, 0xffffff                               // 000000010730: 8652FF52 00FFFFFF
	s_mul_i32 s82, s82, s71                                    // 000000010738: 92524752
	s_mul_i32 s61, s60, s61                                    // 00000001073C: 923D3D3C
	s_add_u32 s82, s82, s61                                    // 000000010740: 80523D52
	v_mul_lo_u32 v6, v5, s82                                   // 000000010744: D2850006 0000A505
	v_readlane_b32 s82, v3, 1                                  // 00000001074C: D2890052 00010303
	s_lshr_b32 s61, s82, 24                                    // 000000010754: 8F3D9852
	s_and_b32 s82, s82, 0xffffff                               // 000000010758: 8652FF52 00FFFFFF
	s_mul_i32 s82, s82, s71                                    // 000000010760: 92524752
	s_mul_i32 s61, s60, s61                                    // 000000010764: 923D3D3C
	s_add_u32 s82, s82, s61                                    // 000000010768: 80523D52
	v_mul_lo_u32 v7, v4, s82                                   // 00000001076C: D2850007 0000A504
	v_add_u32_e32 v38, v6, v7                                  // 000000010774: 684C0F06
	v_readlane_b32 s82, v3, 2                                  // 000000010778: D2890052 00010503
	s_lshr_b32 s61, s82, 24                                    // 000000010780: 8F3D9852
	s_and_b32 s82, s82, 0xffffff                               // 000000010784: 8652FF52 00FFFFFF
	s_mul_i32 s82, s82, s71                                    // 00000001078C: 92524752
	s_mul_i32 s61, s60, s61                                    // 000000010790: 923D3D3C
	s_add_u32 s82, s82, s61                                    // 000000010794: 80523D52
	v_mul_lo_u32 v6, v5, s82                                   // 000000010798: D2850006 0000A505
	v_readlane_b32 s82, v3, 3                                  // 0000000107A0: D2890052 00010703
	s_lshr_b32 s61, s82, 24                                    // 0000000107A8: 8F3D9852
	s_and_b32 s82, s82, 0xffffff                               // 0000000107AC: 8652FF52 00FFFFFF
	s_mul_i32 s82, s82, s71                                    // 0000000107B4: 92524752
	s_mul_i32 s61, s60, s61                                    // 0000000107B8: 923D3D3C
	s_add_u32 s82, s82, s61                                    // 0000000107BC: 80523D52
	v_mul_lo_u32 v7, v4, s82                                   // 0000000107C0: D2850007 0000A504
	v_add_u32_e32 v39, v6, v7                                  // 0000000107C8: 684E0F06
	v_readlane_b32 s82, v3, 4                                  // 0000000107CC: D2890052 00010903
	s_lshr_b32 s61, s82, 24                                    // 0000000107D4: 8F3D9852
	s_and_b32 s82, s82, 0xffffff                               // 0000000107D8: 8652FF52 00FFFFFF
	s_mul_i32 s82, s82, s71                                    // 0000000107E0: 92524752
	s_mul_i32 s61, s60, s61                                    // 0000000107E4: 923D3D3C
	s_add_u32 s82, s82, s61                                    // 0000000107E8: 80523D52
	v_mul_lo_u32 v6, v5, s82                                   // 0000000107EC: D2850006 0000A505
	v_readlane_b32 s82, v3, 5                                  // 0000000107F4: D2890052 00010B03
	s_lshr_b32 s61, s82, 24                                    // 0000000107FC: 8F3D9852
	s_and_b32 s82, s82, 0xffffff                               // 000000010800: 8652FF52 00FFFFFF
	s_mul_i32 s82, s82, s71                                    // 000000010808: 92524752
	s_mul_i32 s61, s60, s61                                    // 00000001080C: 923D3D3C
	s_add_u32 s82, s82, s61                                    // 000000010810: 80523D52
	v_mul_lo_u32 v7, v4, s82                                   // 000000010814: D2850007 0000A504
	v_add_u32_e32 v40, v6, v7                                  // 00000001081C: 68500F06
	v_readlane_b32 s82, v3, 6                                  // 000000010820: D2890052 00010D03
	s_lshr_b32 s61, s82, 24                                    // 000000010828: 8F3D9852
	s_and_b32 s82, s82, 0xffffff                               // 00000001082C: 8652FF52 00FFFFFF
	s_mul_i32 s82, s82, s71                                    // 000000010834: 92524752
	s_mul_i32 s61, s60, s61                                    // 000000010838: 923D3D3C
	s_add_u32 s82, s82, s61                                    // 00000001083C: 80523D52
	v_mul_lo_u32 v6, v5, s82                                   // 000000010840: D2850006 0000A505
	v_readlane_b32 s82, v3, 7                                  // 000000010848: D2890052 00010F03
	s_lshr_b32 s61, s82, 24                                    // 000000010850: 8F3D9852
	s_and_b32 s82, s82, 0xffffff                               // 000000010854: 8652FF52 00FFFFFF
	s_mul_i32 s82, s82, s71                                    // 00000001085C: 92524752
	s_mul_i32 s61, s60, s61                                    // 000000010860: 923D3D3C
	s_add_u32 s82, s82, s61                                    // 000000010864: 80523D52
	v_mul_lo_u32 v7, v4, s82                                   // 000000010868: D2850007 0000A504
	v_add_u32_e32 v41, v6, v7                                  // 000000010870: 68520F06
	v_and_b32_e32 v4, 31, v0                                   // 000000010874: 2608009F
	v_lshrrev_b32_e32 v4, 1, v4                                // 000000010878: 20080881
	s_cmp_eq_u32 s88, 0                                        // 00000001087C: BF068058
	s_cselect_b32 s61, 2, 4                                    // 000000010880: 853D8482
	v_mul_lo_u32 v4, v4, s61                                   // 000000010884: D2850004 00007B04
	v_and_b32_e64 v5, v0, 1                                    // 00000001088C: D1130005 00010300
	v_add_u32_e32 v4, v4, v5                                   // 000000010894: 68080B04
	v_lshlrev_b32_e32 v4, 2, v4                                // 000000010898: 24080882
	v_add_u32_e32 v38, v38, v4                                 // 00000001089C: 684C0926
	v_add_u32_e32 v39, v39, v4                                 // 0000000108A0: 684E0927
	v_add_u32_e32 v40, v40, v4                                 // 0000000108A4: 68500928
	v_add_u32_e32 v41, v41, v4                                 // 0000000108A8: 68520929
	s_waitcnt lgkmcnt(0)                                       // 0000000108AC: BF8CC07F
	s_barrier                                                  // 0000000108B0: BF8A0000
	ds_read_b32 v52, v21                                       // 0000000108B4: D86C0000 34000015
	ds_read_b32 v53, v21 offset:64                             // 0000000108BC: D86C0040 35000015
	ds_read_b32 v56, v21 offset:2176                           // 0000000108C4: D86C0880 38000015
	ds_read_b32 v57, v21 offset:2240                           // 0000000108CC: D86C08C0 39000015
	ds_read_b32 v60, v21 offset:4352                           // 0000000108D4: D86C1100 3C000015
	ds_read_b32 v61, v21 offset:4416                           // 0000000108DC: D86C1140 3D000015
	ds_read_b32 v64, v21 offset:6528                           // 0000000108E4: D86C1980 40000015
	ds_read_b32 v65, v21 offset:6592                           // 0000000108EC: D86C19C0 41000015
	ds_read_b32 v68, v21 offset:8704                           // 0000000108F4: D86C2200 44000015
	ds_read_b32 v69, v21 offset:8768                           // 0000000108FC: D86C2240 45000015
	ds_read_b32 v72, v21 offset:10880                          // 000000010904: D86C2A80 48000015
	ds_read_b32 v73, v21 offset:10944                          // 00000001090C: D86C2AC0 49000015
	ds_read_b32 v76, v21 offset:13056                          // 000000010914: D86C3300 4C000015
	ds_read_b32 v77, v21 offset:13120                          // 00000001091C: D86C3340 4D000015
	ds_read_b32 v80, v21 offset:15232                          // 000000010924: D86C3B80 50000015
	ds_read_b32 v81, v21 offset:15296                          // 00000001092C: D86C3BC0 51000015
	ds_read_b32 v84, v21 offset:17408                          // 000000010934: D86C4400 54000015
	ds_read_b32 v85, v21 offset:17472                          // 00000001093C: D86C4440 55000015
	ds_read_b32 v88, v21 offset:19584                          // 000000010944: D86C4C80 58000015
	ds_read_b32 v89, v21 offset:19648                          // 00000001094C: D86C4CC0 59000015
	ds_read_b32 v92, v21 offset:21760                          // 000000010954: D86C5500 5C000015
	ds_read_b32 v93, v21 offset:21824                          // 00000001095C: D86C5540 5D000015
	ds_read_b32 v96, v21 offset:23936                          // 000000010964: D86C5D80 60000015
	ds_read_b32 v97, v21 offset:24000                          // 00000001096C: D86C5DC0 61000015
	ds_read_b32 v100, v21 offset:26112                         // 000000010974: D86C6600 64000015
	ds_read_b32 v101, v21 offset:26176                         // 00000001097C: D86C6640 65000015
	ds_read_b32 v104, v21 offset:28288                         // 000000010984: D86C6E80 68000015
	ds_read_b32 v105, v21 offset:28352                         // 00000001098C: D86C6EC0 69000015
	ds_read_b32 v108, v21 offset:30464                         // 000000010994: D86C7700 6C000015
	ds_read_b32 v109, v21 offset:30528                         // 00000001099C: D86C7740 6D000015
	ds_read_b32 v112, v21 offset:32640                         // 0000000109A4: D86C7F80 70000015
	ds_read_b32 v113, v21 offset:32704                         // 0000000109AC: D86C7FC0 71000015
	s_waitcnt lgkmcnt(0)                                       // 0000000109B4: BF8CC07F
	s_mov_b32 s36, -1                                          // 0000000109B8: BEA400C1
	s_mov_b32 s37, -1                                          // 0000000109BC: BEA500C1
	v_mov_b32_e32 v7, 0                                        // 0000000109C0: 7E0E0280
	s_mov_b64 exec, s[36:37]                                   // 0000000109C4: BEFE0124
	v_mov_b32_e32 v6, v38                                      // 0000000109C8: 7E0C0326
	s_mov_b64 s[60:61], 0                                      // 0000000109CC: BEBC0180
	v_readlane_b32 s82, v3, 0                                  // 0000000109D0: D2890052 00010103
	s_and_b32 s82, s82, 0xffffff                               // 0000000109D8: 8652FF52 00FFFFFF
	s_cmp_lt_u32 s82, s66                                      // 0000000109E0: BF0A4252
	s_cselect_b32 s20, s36, s60                                // 0000000109E4: 85143C24
	v_readlane_b32 s82, v3, 1                                  // 0000000109E8: D2890052 00010303
	s_and_b32 s82, s82, 0xffffff                               // 0000000109F0: 8652FF52 00FFFFFF
	s_cmp_lt_u32 s82, s66                                      // 0000000109F8: BF0A4252
	s_cselect_b32 s21, s36, s60                                // 0000000109FC: 85153C24
	s_mov_b64 exec, s[20:21]                                   // 000000010A00: BEFE0114
	global_atomic_add_f32 v6, v52, s[8:9]                      // 000000010A04: DD348000 00083406
	global_atomic_add_f32 v6, v56, s[8:9] offset:256           // 000000010A0C: DD348100 00083806
	global_atomic_add_f32 v6, v60, s[8:9] offset:512           // 000000010A14: DD348200 00083C06
	global_atomic_add_f32 v6, v64, s[8:9] offset:768           // 000000010A1C: DD348300 00084006
	global_atomic_add_f32 v6, v68, s[8:9] offset:1024          // 000000010A24: DD348400 00084406
	global_atomic_add_f32 v6, v72, s[8:9] offset:1280          // 000000010A2C: DD348500 00084806
	global_atomic_add_f32 v6, v76, s[8:9] offset:1536          // 000000010A34: DD348600 00084C06
	global_atomic_add_f32 v6, v80, s[8:9] offset:1792          // 000000010A3C: DD348700 00085006
	s_mov_b64 exec, s[36:37]                                   // 000000010A44: BEFE0124
	v_mov_b32_e32 v6, v39                                      // 000000010A48: 7E0C0327
	s_mov_b64 s[60:61], 0                                      // 000000010A4C: BEBC0180
	v_readlane_b32 s82, v3, 2                                  // 000000010A50: D2890052 00010503
	s_and_b32 s82, s82, 0xffffff                               // 000000010A58: 8652FF52 00FFFFFF
	s_cmp_lt_u32 s82, s66                                      // 000000010A60: BF0A4252
	s_cselect_b32 s20, s36, s60                                // 000000010A64: 85143C24
	v_readlane_b32 s82, v3, 3                                  // 000000010A68: D2890052 00010703
	s_and_b32 s82, s82, 0xffffff                               // 000000010A70: 8652FF52 00FFFFFF
	s_cmp_lt_u32 s82, s66                                      // 000000010A78: BF0A4252
	s_cselect_b32 s21, s36, s60                                // 000000010A7C: 85153C24
	s_mov_b64 exec, s[20:21]                                   // 000000010A80: BEFE0114
	global_atomic_add_f32 v6, v53, s[8:9]                      // 000000010A84: DD348000 00083506
	global_atomic_add_f32 v6, v57, s[8:9] offset:256           // 000000010A8C: DD348100 00083906
	global_atomic_add_f32 v6, v61, s[8:9] offset:512           // 000000010A94: DD348200 00083D06
	global_atomic_add_f32 v6, v65, s[8:9] offset:768           // 000000010A9C: DD348300 00084106
	global_atomic_add_f32 v6, v69, s[8:9] offset:1024          // 000000010AA4: DD348400 00084506
	global_atomic_add_f32 v6, v73, s[8:9] offset:1280          // 000000010AAC: DD348500 00084906
	global_atomic_add_f32 v6, v77, s[8:9] offset:1536          // 000000010AB4: DD348600 00084D06
	global_atomic_add_f32 v6, v81, s[8:9] offset:1792          // 000000010ABC: DD348700 00085106
	s_mov_b64 exec, s[36:37]                                   // 000000010AC4: BEFE0124
	v_mov_b32_e32 v6, v40                                      // 000000010AC8: 7E0C0328
	s_mov_b64 s[60:61], 0                                      // 000000010ACC: BEBC0180
	v_readlane_b32 s82, v3, 4                                  // 000000010AD0: D2890052 00010903
	s_and_b32 s82, s82, 0xffffff                               // 000000010AD8: 8652FF52 00FFFFFF
	s_cmp_lt_u32 s82, s66                                      // 000000010AE0: BF0A4252
	s_cselect_b32 s20, s36, s60                                // 000000010AE4: 85143C24
	v_readlane_b32 s82, v3, 5                                  // 000000010AE8: D2890052 00010B03
	s_and_b32 s82, s82, 0xffffff                               // 000000010AF0: 8652FF52 00FFFFFF
	s_cmp_lt_u32 s82, s66                                      // 000000010AF8: BF0A4252
	s_cselect_b32 s21, s36, s60                                // 000000010AFC: 85153C24
	s_mov_b64 exec, s[20:21]                                   // 000000010B00: BEFE0114
	global_atomic_add_f32 v6, v84, s[8:9]                      // 000000010B04: DD348000 00085406
	global_atomic_add_f32 v6, v88, s[8:9] offset:256           // 000000010B0C: DD348100 00085806
	global_atomic_add_f32 v6, v92, s[8:9] offset:512           // 000000010B14: DD348200 00085C06
	global_atomic_add_f32 v6, v96, s[8:9] offset:768           // 000000010B1C: DD348300 00086006
	global_atomic_add_f32 v6, v100, s[8:9] offset:1024         // 000000010B24: DD348400 00086406
	global_atomic_add_f32 v6, v104, s[8:9] offset:1280         // 000000010B2C: DD348500 00086806
	global_atomic_add_f32 v6, v108, s[8:9] offset:1536         // 000000010B34: DD348600 00086C06
	global_atomic_add_f32 v6, v112, s[8:9] offset:1792         // 000000010B3C: DD348700 00087006
	s_mov_b64 exec, s[36:37]                                   // 000000010B44: BEFE0124
	v_mov_b32_e32 v6, v41                                      // 000000010B48: 7E0C0329
	s_mov_b64 s[60:61], 0                                      // 000000010B4C: BEBC0180
	v_readlane_b32 s82, v3, 6                                  // 000000010B50: D2890052 00010D03
	s_and_b32 s82, s82, 0xffffff                               // 000000010B58: 8652FF52 00FFFFFF
	s_cmp_lt_u32 s82, s66                                      // 000000010B60: BF0A4252
	s_cselect_b32 s20, s36, s60                                // 000000010B64: 85143C24
	v_readlane_b32 s82, v3, 7                                  // 000000010B68: D2890052 00010F03
	s_and_b32 s82, s82, 0xffffff                               // 000000010B70: 8652FF52 00FFFFFF
	s_cmp_lt_u32 s82, s66                                      // 000000010B78: BF0A4252
	s_cselect_b32 s21, s36, s60                                // 000000010B7C: 85153C24
	s_mov_b64 exec, s[20:21]                                   // 000000010B80: BEFE0114
	global_atomic_add_f32 v6, v85, s[8:9]                      // 000000010B84: DD348000 00085506
	global_atomic_add_f32 v6, v89, s[8:9] offset:256           // 000000010B8C: DD348100 00085906
	global_atomic_add_f32 v6, v93, s[8:9] offset:512           // 000000010B94: DD348200 00085D06
	global_atomic_add_f32 v6, v97, s[8:9] offset:768           // 000000010B9C: DD348300 00086106
	global_atomic_add_f32 v6, v101, s[8:9] offset:1024         // 000000010BA4: DD348400 00086506
	global_atomic_add_f32 v6, v105, s[8:9] offset:1280         // 000000010BAC: DD348500 00086906
	global_atomic_add_f32 v6, v109, s[8:9] offset:1536         // 000000010BB4: DD348600 00086D06
	global_atomic_add_f32 v6, v113, s[8:9] offset:1792         // 000000010BBC: DD348700 00087106
	s_mov_b64 exec, s[36:37]                                   // 000000010BC4: BEFE0124
	ds_write_b64 v20, v[54:55]                                 // 000000010BC8: D89A0000 00003614
	ds_write_b64 v20, v[58:59] offset:17408                    // 000000010BD0: D89A4400 00003A14
	ds_write_b64 v20, v[62:63] offset:2176                     // 000000010BD8: D89A0880 00003E14
	ds_write_b64 v20, v[66:67] offset:19584                    // 000000010BE0: D89A4C80 00004214
	ds_write_b64 v20, v[70:71] offset:4352                     // 000000010BE8: D89A1100 00004614
	ds_write_b64 v20, v[74:75] offset:21760                    // 000000010BF0: D89A5500 00004A14
	ds_write_b64 v20, v[78:79] offset:6528                     // 000000010BF8: D89A1980 00004E14
	ds_write_b64 v20, v[82:83] offset:23936                    // 000000010C00: D89A5D80 00005214
	ds_write_b64 v20, v[86:87] offset:8704                     // 000000010C08: D89A2200 00005614
	ds_write_b64 v20, v[90:91] offset:26112                    // 000000010C10: D89A6600 00005A14
	ds_write_b64 v20, v[94:95] offset:10880                    // 000000010C18: D89A2A80 00005E14
	ds_write_b64 v20, v[98:99] offset:28288                    // 000000010C20: D89A6E80 00006214
	ds_write_b64 v20, v[102:103] offset:13056                  // 000000010C28: D89A3300 00006614
	ds_write_b64 v20, v[106:107] offset:30464                  // 000000010C30: D89A7700 00006A14
	ds_write_b64 v20, v[110:111] offset:15232                  // 000000010C38: D89A3B80 00006E14
	ds_write_b64 v20, v[114:115] offset:32640                  // 000000010C40: D89A7F80 00007214
	s_waitcnt lgkmcnt(0)                                       // 000000010C48: BF8CC07F
	s_barrier                                                  // 000000010C4C: BF8A0000
	ds_read_b32 v54, v21                                       // 000000010C50: D86C0000 36000015
	ds_read_b32 v55, v21 offset:64                             // 000000010C58: D86C0040 37000015
	ds_read_b32 v58, v21 offset:2176                           // 000000010C60: D86C0880 3A000015
	ds_read_b32 v59, v21 offset:2240                           // 000000010C68: D86C08C0 3B000015
	ds_read_b32 v62, v21 offset:4352                           // 000000010C70: D86C1100 3E000015
	ds_read_b32 v63, v21 offset:4416                           // 000000010C78: D86C1140 3F000015
	ds_read_b32 v66, v21 offset:6528                           // 000000010C80: D86C1980 42000015
	ds_read_b32 v67, v21 offset:6592                           // 000000010C88: D86C19C0 43000015
	ds_read_b32 v70, v21 offset:8704                           // 000000010C90: D86C2200 46000015
	ds_read_b32 v71, v21 offset:8768                           // 000000010C98: D86C2240 47000015
	ds_read_b32 v74, v21 offset:10880                          // 000000010CA0: D86C2A80 4A000015
	ds_read_b32 v75, v21 offset:10944                          // 000000010CA8: D86C2AC0 4B000015
	ds_read_b32 v78, v21 offset:13056                          // 000000010CB0: D86C3300 4E000015
	ds_read_b32 v79, v21 offset:13120                          // 000000010CB8: D86C3340 4F000015
	ds_read_b32 v82, v21 offset:15232                          // 000000010CC0: D86C3B80 52000015
	ds_read_b32 v83, v21 offset:15296                          // 000000010CC8: D86C3BC0 53000015
	ds_read_b32 v86, v21 offset:17408                          // 000000010CD0: D86C4400 56000015
	ds_read_b32 v87, v21 offset:17472                          // 000000010CD8: D86C4440 57000015
	ds_read_b32 v90, v21 offset:19584                          // 000000010CE0: D86C4C80 5A000015
	ds_read_b32 v91, v21 offset:19648                          // 000000010CE8: D86C4CC0 5B000015
	ds_read_b32 v94, v21 offset:21760                          // 000000010CF0: D86C5500 5E000015
	ds_read_b32 v95, v21 offset:21824                          // 000000010CF8: D86C5540 5F000015
	ds_read_b32 v98, v21 offset:23936                          // 000000010D00: D86C5D80 62000015
	ds_read_b32 v99, v21 offset:24000                          // 000000010D08: D86C5DC0 63000015
	ds_read_b32 v102, v21 offset:26112                         // 000000010D10: D86C6600 66000015
	ds_read_b32 v103, v21 offset:26176                         // 000000010D18: D86C6640 67000015
	ds_read_b32 v106, v21 offset:28288                         // 000000010D20: D86C6E80 6A000015
	ds_read_b32 v107, v21 offset:28352                         // 000000010D28: D86C6EC0 6B000015
	ds_read_b32 v110, v21 offset:30464                         // 000000010D30: D86C7700 6E000015
	ds_read_b32 v111, v21 offset:30528                         // 000000010D38: D86C7740 6F000015
	ds_read_b32 v114, v21 offset:32640                         // 000000010D40: D86C7F80 72000015
	ds_read_b32 v115, v21 offset:32704                         // 000000010D48: D86C7FC0 73000015
	s_waitcnt lgkmcnt(0)                                       // 000000010D50: BF8CC07F
	v_mov_b32_e32 v7, 0                                        // 000000010D54: 7E0E0280
	s_mov_b64 exec, s[36:37]                                   // 000000010D58: BEFE0124
	v_mov_b32_e32 v6, v38                                      // 000000010D5C: 7E0C0326
	s_mov_b64 s[60:61], 0                                      // 000000010D60: BEBC0180
	v_readlane_b32 s82, v3, 0                                  // 000000010D64: D2890052 00010103
	s_and_b32 s82, s82, 0xffffff                               // 000000010D6C: 8652FF52 00FFFFFF
	s_cmp_lt_u32 s82, s66                                      // 000000010D74: BF0A4252
	s_cselect_b32 s20, s36, s60                                // 000000010D78: 85143C24
	v_readlane_b32 s82, v3, 1                                  // 000000010D7C: D2890052 00010303
	s_and_b32 s82, s82, 0xffffff                               // 000000010D84: 8652FF52 00FFFFFF
	s_cmp_lt_u32 s82, s66                                      // 000000010D8C: BF0A4252
	s_cselect_b32 s21, s36, s60                                // 000000010D90: 85153C24
	s_mov_b64 exec, s[20:21]                                   // 000000010D94: BEFE0114
	global_atomic_add_f32 v6, v54, s[8:9] offset:8             // 000000010D98: DD348008 00083606
	global_atomic_add_f32 v6, v58, s[8:9] offset:264           // 000000010DA0: DD348108 00083A06
	global_atomic_add_f32 v6, v62, s[8:9] offset:520           // 000000010DA8: DD348208 00083E06
	global_atomic_add_f32 v6, v66, s[8:9] offset:776           // 000000010DB0: DD348308 00084206
	global_atomic_add_f32 v6, v70, s[8:9] offset:1032          // 000000010DB8: DD348408 00084606
	global_atomic_add_f32 v6, v74, s[8:9] offset:1288          // 000000010DC0: DD348508 00084A06
	global_atomic_add_f32 v6, v78, s[8:9] offset:1544          // 000000010DC8: DD348608 00084E06
	global_atomic_add_f32 v6, v82, s[8:9] offset:1800          // 000000010DD0: DD348708 00085206
	s_mov_b64 exec, s[36:37]                                   // 000000010DD8: BEFE0124
	v_mov_b32_e32 v6, v39                                      // 000000010DDC: 7E0C0327
	s_mov_b64 s[60:61], 0                                      // 000000010DE0: BEBC0180
	v_readlane_b32 s82, v3, 2                                  // 000000010DE4: D2890052 00010503
	s_and_b32 s82, s82, 0xffffff                               // 000000010DEC: 8652FF52 00FFFFFF
	s_cmp_lt_u32 s82, s66                                      // 000000010DF4: BF0A4252
	s_cselect_b32 s20, s36, s60                                // 000000010DF8: 85143C24
	v_readlane_b32 s82, v3, 3                                  // 000000010DFC: D2890052 00010703
	s_and_b32 s82, s82, 0xffffff                               // 000000010E04: 8652FF52 00FFFFFF
	s_cmp_lt_u32 s82, s66                                      // 000000010E0C: BF0A4252
	s_cselect_b32 s21, s36, s60                                // 000000010E10: 85153C24
	s_mov_b64 exec, s[20:21]                                   // 000000010E14: BEFE0114
	global_atomic_add_f32 v6, v55, s[8:9] offset:8             // 000000010E18: DD348008 00083706
	global_atomic_add_f32 v6, v59, s[8:9] offset:264           // 000000010E20: DD348108 00083B06
	global_atomic_add_f32 v6, v63, s[8:9] offset:520           // 000000010E28: DD348208 00083F06
	global_atomic_add_f32 v6, v67, s[8:9] offset:776           // 000000010E30: DD348308 00084306
	global_atomic_add_f32 v6, v71, s[8:9] offset:1032          // 000000010E38: DD348408 00084706
	global_atomic_add_f32 v6, v75, s[8:9] offset:1288          // 000000010E40: DD348508 00084B06
	global_atomic_add_f32 v6, v79, s[8:9] offset:1544          // 000000010E48: DD348608 00084F06
	global_atomic_add_f32 v6, v83, s[8:9] offset:1800          // 000000010E50: DD348708 00085306
	s_mov_b64 exec, s[36:37]                                   // 000000010E58: BEFE0124
	v_mov_b32_e32 v6, v40                                      // 000000010E5C: 7E0C0328
	s_mov_b64 s[60:61], 0                                      // 000000010E60: BEBC0180
	v_readlane_b32 s82, v3, 4                                  // 000000010E64: D2890052 00010903
	s_and_b32 s82, s82, 0xffffff                               // 000000010E6C: 8652FF52 00FFFFFF
	s_cmp_lt_u32 s82, s66                                      // 000000010E74: BF0A4252
	s_cselect_b32 s20, s36, s60                                // 000000010E78: 85143C24
	v_readlane_b32 s82, v3, 5                                  // 000000010E7C: D2890052 00010B03
	s_and_b32 s82, s82, 0xffffff                               // 000000010E84: 8652FF52 00FFFFFF
	s_cmp_lt_u32 s82, s66                                      // 000000010E8C: BF0A4252
	s_cselect_b32 s21, s36, s60                                // 000000010E90: 85153C24
	s_mov_b64 exec, s[20:21]                                   // 000000010E94: BEFE0114
	global_atomic_add_f32 v6, v86, s[8:9] offset:8             // 000000010E98: DD348008 00085606
	global_atomic_add_f32 v6, v90, s[8:9] offset:264           // 000000010EA0: DD348108 00085A06
	global_atomic_add_f32 v6, v94, s[8:9] offset:520           // 000000010EA8: DD348208 00085E06
	global_atomic_add_f32 v6, v98, s[8:9] offset:776           // 000000010EB0: DD348308 00086206
	global_atomic_add_f32 v6, v102, s[8:9] offset:1032         // 000000010EB8: DD348408 00086606
	global_atomic_add_f32 v6, v106, s[8:9] offset:1288         // 000000010EC0: DD348508 00086A06
	global_atomic_add_f32 v6, v110, s[8:9] offset:1544         // 000000010EC8: DD348608 00086E06
	global_atomic_add_f32 v6, v114, s[8:9] offset:1800         // 000000010ED0: DD348708 00087206
	s_mov_b64 exec, s[36:37]                                   // 000000010ED8: BEFE0124
	v_mov_b32_e32 v6, v41                                      // 000000010EDC: 7E0C0329
	s_mov_b64 s[60:61], 0                                      // 000000010EE0: BEBC0180
	v_readlane_b32 s82, v3, 6                                  // 000000010EE4: D2890052 00010D03
	s_and_b32 s82, s82, 0xffffff                               // 000000010EEC: 8652FF52 00FFFFFF
	s_cmp_lt_u32 s82, s66                                      // 000000010EF4: BF0A4252
	s_cselect_b32 s20, s36, s60                                // 000000010EF8: 85143C24
	v_readlane_b32 s82, v3, 7                                  // 000000010EFC: D2890052 00010F03
	s_and_b32 s82, s82, 0xffffff                               // 000000010F04: 8652FF52 00FFFFFF
	s_cmp_lt_u32 s82, s66                                      // 000000010F0C: BF0A4252
	s_cselect_b32 s21, s36, s60                                // 000000010F10: 85153C24
	s_mov_b64 exec, s[20:21]                                   // 000000010F14: BEFE0114
	global_atomic_add_f32 v6, v87, s[8:9] offset:8             // 000000010F18: DD348008 00085706
	global_atomic_add_f32 v6, v91, s[8:9] offset:264           // 000000010F20: DD348108 00085B06
	global_atomic_add_f32 v6, v95, s[8:9] offset:520           // 000000010F28: DD348208 00085F06
	global_atomic_add_f32 v6, v99, s[8:9] offset:776           // 000000010F30: DD348308 00086306
	global_atomic_add_f32 v6, v103, s[8:9] offset:1032         // 000000010F38: DD348408 00086706
	global_atomic_add_f32 v6, v107, s[8:9] offset:1288         // 000000010F40: DD348508 00086B06
	global_atomic_add_f32 v6, v111, s[8:9] offset:1544         // 000000010F48: DD348608 00086F06
	global_atomic_add_f32 v6, v115, s[8:9] offset:1800         // 000000010F50: DD348708 00087306
	s_mov_b64 exec, s[36:37]                                   // 000000010F58: BEFE0124
	ds_write_b64 v20, v[116:117]                               // 000000010F5C: D89A0000 00007414
	ds_write_b64 v20, v[120:121] offset:17408                  // 000000010F64: D89A4400 00007814
	ds_write_b64 v20, v[124:125] offset:2176                   // 000000010F6C: D89A0880 00007C14
	ds_write_b64 v20, v[128:129] offset:19584                  // 000000010F74: D89A4C80 00008014
	ds_write_b64 v20, v[132:133] offset:4352                   // 000000010F7C: D89A1100 00008414
	ds_write_b64 v20, v[136:137] offset:21760                  // 000000010F84: D89A5500 00008814
	ds_write_b64 v20, v[140:141] offset:6528                   // 000000010F8C: D89A1980 00008C14
	ds_write_b64 v20, v[144:145] offset:23936                  // 000000010F94: D89A5D80 00009014
	ds_write_b64 v20, v[148:149] offset:8704                   // 000000010F9C: D89A2200 00009414
	ds_write_b64 v20, v[152:153] offset:26112                  // 000000010FA4: D89A6600 00009814
	ds_write_b64 v20, v[156:157] offset:10880                  // 000000010FAC: D89A2A80 00009C14
	ds_write_b64 v20, v[160:161] offset:28288                  // 000000010FB4: D89A6E80 0000A014
	ds_write_b64 v20, v[164:165] offset:13056                  // 000000010FBC: D89A3300 0000A414
	ds_write_b64 v20, v[168:169] offset:30464                  // 000000010FC4: D89A7700 0000A814
	ds_write_b64 v20, v[172:173] offset:15232                  // 000000010FCC: D89A3B80 0000AC14
	ds_write_b64 v20, v[176:177] offset:32640                  // 000000010FD4: D89A7F80 0000B014
	s_waitcnt lgkmcnt(0)                                       // 000000010FDC: BF8CC07F
	s_barrier                                                  // 000000010FE0: BF8A0000
	ds_read_b32 v116, v21                                      // 000000010FE4: D86C0000 74000015
	ds_read_b32 v117, v21 offset:64                            // 000000010FEC: D86C0040 75000015
	ds_read_b32 v120, v21 offset:2176                          // 000000010FF4: D86C0880 78000015
	ds_read_b32 v121, v21 offset:2240                          // 000000010FFC: D86C08C0 79000015
	ds_read_b32 v124, v21 offset:4352                          // 000000011004: D86C1100 7C000015
	ds_read_b32 v125, v21 offset:4416                          // 00000001100C: D86C1140 7D000015
	ds_read_b32 v128, v21 offset:6528                          // 000000011014: D86C1980 80000015
	ds_read_b32 v129, v21 offset:6592                          // 00000001101C: D86C19C0 81000015
	ds_read_b32 v132, v21 offset:8704                          // 000000011024: D86C2200 84000015
	ds_read_b32 v133, v21 offset:8768                          // 00000001102C: D86C2240 85000015
	ds_read_b32 v136, v21 offset:10880                         // 000000011034: D86C2A80 88000015
	ds_read_b32 v137, v21 offset:10944                         // 00000001103C: D86C2AC0 89000015
	ds_read_b32 v140, v21 offset:13056                         // 000000011044: D86C3300 8C000015
	ds_read_b32 v141, v21 offset:13120                         // 00000001104C: D86C3340 8D000015
	ds_read_b32 v144, v21 offset:15232                         // 000000011054: D86C3B80 90000015
	ds_read_b32 v145, v21 offset:15296                         // 00000001105C: D86C3BC0 91000015
	ds_read_b32 v148, v21 offset:17408                         // 000000011064: D86C4400 94000015
	ds_read_b32 v149, v21 offset:17472                         // 00000001106C: D86C4440 95000015
	ds_read_b32 v152, v21 offset:19584                         // 000000011074: D86C4C80 98000015
	ds_read_b32 v153, v21 offset:19648                         // 00000001107C: D86C4CC0 99000015
	ds_read_b32 v156, v21 offset:21760                         // 000000011084: D86C5500 9C000015
	ds_read_b32 v157, v21 offset:21824                         // 00000001108C: D86C5540 9D000015
	ds_read_b32 v160, v21 offset:23936                         // 000000011094: D86C5D80 A0000015
	ds_read_b32 v161, v21 offset:24000                         // 00000001109C: D86C5DC0 A1000015
	ds_read_b32 v164, v21 offset:26112                         // 0000000110A4: D86C6600 A4000015
	ds_read_b32 v165, v21 offset:26176                         // 0000000110AC: D86C6640 A5000015
	ds_read_b32 v168, v21 offset:28288                         // 0000000110B4: D86C6E80 A8000015
	ds_read_b32 v169, v21 offset:28352                         // 0000000110BC: D86C6EC0 A9000015
	ds_read_b32 v172, v21 offset:30464                         // 0000000110C4: D86C7700 AC000015
	ds_read_b32 v173, v21 offset:30528                         // 0000000110CC: D86C7740 AD000015
	ds_read_b32 v176, v21 offset:32640                         // 0000000110D4: D86C7F80 B0000015
	ds_read_b32 v177, v21 offset:32704                         // 0000000110DC: D86C7FC0 B1000015
	s_mul_i32 s60, s65, 4                                      // 0000000110E4: 923C8441
	s_add_u32 s8, s60, s8                                      // 0000000110E8: 8008083C
	s_addc_u32 s9, 0, s9                                       // 0000000110EC: 82090980
	s_waitcnt lgkmcnt(0)                                       // 0000000110F0: BF8CC07F
	v_mov_b32_e32 v7, 0                                        // 0000000110F4: 7E0E0280
	s_mov_b64 exec, s[36:37]                                   // 0000000110F8: BEFE0124
	v_mov_b32_e32 v6, v38                                      // 0000000110FC: 7E0C0326
	s_mov_b64 s[60:61], 0                                      // 000000011100: BEBC0180
	v_readlane_b32 s82, v3, 0                                  // 000000011104: D2890052 00010103
	s_and_b32 s82, s82, 0xffffff                               // 00000001110C: 8652FF52 00FFFFFF
	s_cmp_lt_u32 s82, s66                                      // 000000011114: BF0A4252
	s_cselect_b32 s20, s36, s60                                // 000000011118: 85143C24
	v_readlane_b32 s82, v3, 1                                  // 00000001111C: D2890052 00010303
	s_and_b32 s82, s82, 0xffffff                               // 000000011124: 8652FF52 00FFFFFF
	s_cmp_lt_u32 s82, s66                                      // 00000001112C: BF0A4252
	s_cselect_b32 s21, s36, s60                                // 000000011130: 85153C24
	s_mov_b64 exec, s[20:21]                                   // 000000011134: BEFE0114
	global_atomic_add_f32 v6, v116, s[8:9]                     // 000000011138: DD348000 00087406
	global_atomic_add_f32 v6, v120, s[8:9] offset:256          // 000000011140: DD348100 00087806
	global_atomic_add_f32 v6, v124, s[8:9] offset:512          // 000000011148: DD348200 00087C06
	global_atomic_add_f32 v6, v128, s[8:9] offset:768          // 000000011150: DD348300 00088006
	global_atomic_add_f32 v6, v132, s[8:9] offset:1024         // 000000011158: DD348400 00088406
	global_atomic_add_f32 v6, v136, s[8:9] offset:1280         // 000000011160: DD348500 00088806
	global_atomic_add_f32 v6, v140, s[8:9] offset:1536         // 000000011168: DD348600 00088C06
	global_atomic_add_f32 v6, v144, s[8:9] offset:1792         // 000000011170: DD348700 00089006
	s_mov_b64 exec, s[36:37]                                   // 000000011178: BEFE0124
	v_mov_b32_e32 v6, v39                                      // 00000001117C: 7E0C0327
	s_mov_b64 s[60:61], 0                                      // 000000011180: BEBC0180
	v_readlane_b32 s82, v3, 2                                  // 000000011184: D2890052 00010503
	s_and_b32 s82, s82, 0xffffff                               // 00000001118C: 8652FF52 00FFFFFF
	s_cmp_lt_u32 s82, s66                                      // 000000011194: BF0A4252
	s_cselect_b32 s20, s36, s60                                // 000000011198: 85143C24
	v_readlane_b32 s82, v3, 3                                  // 00000001119C: D2890052 00010703
	s_and_b32 s82, s82, 0xffffff                               // 0000000111A4: 8652FF52 00FFFFFF
	s_cmp_lt_u32 s82, s66                                      // 0000000111AC: BF0A4252
	s_cselect_b32 s21, s36, s60                                // 0000000111B0: 85153C24
	s_mov_b64 exec, s[20:21]                                   // 0000000111B4: BEFE0114
	global_atomic_add_f32 v6, v117, s[8:9]                     // 0000000111B8: DD348000 00087506
	global_atomic_add_f32 v6, v121, s[8:9] offset:256          // 0000000111C0: DD348100 00087906
	global_atomic_add_f32 v6, v125, s[8:9] offset:512          // 0000000111C8: DD348200 00087D06
	global_atomic_add_f32 v6, v129, s[8:9] offset:768          // 0000000111D0: DD348300 00088106
	global_atomic_add_f32 v6, v133, s[8:9] offset:1024         // 0000000111D8: DD348400 00088506
	global_atomic_add_f32 v6, v137, s[8:9] offset:1280         // 0000000111E0: DD348500 00088906
	global_atomic_add_f32 v6, v141, s[8:9] offset:1536         // 0000000111E8: DD348600 00088D06
	global_atomic_add_f32 v6, v145, s[8:9] offset:1792         // 0000000111F0: DD348700 00089106
	s_mov_b64 exec, s[36:37]                                   // 0000000111F8: BEFE0124
	v_mov_b32_e32 v6, v40                                      // 0000000111FC: 7E0C0328
	s_mov_b64 s[60:61], 0                                      // 000000011200: BEBC0180
	v_readlane_b32 s82, v3, 4                                  // 000000011204: D2890052 00010903
	s_and_b32 s82, s82, 0xffffff                               // 00000001120C: 8652FF52 00FFFFFF
	s_cmp_lt_u32 s82, s66                                      // 000000011214: BF0A4252
	s_cselect_b32 s20, s36, s60                                // 000000011218: 85143C24
	v_readlane_b32 s82, v3, 5                                  // 00000001121C: D2890052 00010B03
	s_and_b32 s82, s82, 0xffffff                               // 000000011224: 8652FF52 00FFFFFF
	s_cmp_lt_u32 s82, s66                                      // 00000001122C: BF0A4252
	s_cselect_b32 s21, s36, s60                                // 000000011230: 85153C24
	s_mov_b64 exec, s[20:21]                                   // 000000011234: BEFE0114
	global_atomic_add_f32 v6, v148, s[8:9]                     // 000000011238: DD348000 00089406
	global_atomic_add_f32 v6, v152, s[8:9] offset:256          // 000000011240: DD348100 00089806
	global_atomic_add_f32 v6, v156, s[8:9] offset:512          // 000000011248: DD348200 00089C06
	global_atomic_add_f32 v6, v160, s[8:9] offset:768          // 000000011250: DD348300 0008A006
	global_atomic_add_f32 v6, v164, s[8:9] offset:1024         // 000000011258: DD348400 0008A406
	global_atomic_add_f32 v6, v168, s[8:9] offset:1280         // 000000011260: DD348500 0008A806
	global_atomic_add_f32 v6, v172, s[8:9] offset:1536         // 000000011268: DD348600 0008AC06
	global_atomic_add_f32 v6, v176, s[8:9] offset:1792         // 000000011270: DD348700 0008B006
	s_mov_b64 exec, s[36:37]                                   // 000000011278: BEFE0124
	v_mov_b32_e32 v6, v41                                      // 00000001127C: 7E0C0329
	s_mov_b64 s[60:61], 0                                      // 000000011280: BEBC0180
	v_readlane_b32 s82, v3, 6                                  // 000000011284: D2890052 00010D03
	s_and_b32 s82, s82, 0xffffff                               // 00000001128C: 8652FF52 00FFFFFF
	s_cmp_lt_u32 s82, s66                                      // 000000011294: BF0A4252
	s_cselect_b32 s20, s36, s60                                // 000000011298: 85143C24
	v_readlane_b32 s82, v3, 7                                  // 00000001129C: D2890052 00010F03
	s_and_b32 s82, s82, 0xffffff                               // 0000000112A4: 8652FF52 00FFFFFF
	s_cmp_lt_u32 s82, s66                                      // 0000000112AC: BF0A4252
	s_cselect_b32 s21, s36, s60                                // 0000000112B0: 85153C24
	s_mov_b64 exec, s[20:21]                                   // 0000000112B4: BEFE0114
	global_atomic_add_f32 v6, v149, s[8:9]                     // 0000000112B8: DD348000 00089506
	global_atomic_add_f32 v6, v153, s[8:9] offset:256          // 0000000112C0: DD348100 00089906
	global_atomic_add_f32 v6, v157, s[8:9] offset:512          // 0000000112C8: DD348200 00089D06
	global_atomic_add_f32 v6, v161, s[8:9] offset:768          // 0000000112D0: DD348300 0008A106
	global_atomic_add_f32 v6, v165, s[8:9] offset:1024         // 0000000112D8: DD348400 0008A506
	global_atomic_add_f32 v6, v169, s[8:9] offset:1280         // 0000000112E0: DD348500 0008A906
	global_atomic_add_f32 v6, v173, s[8:9] offset:1536         // 0000000112E8: DD348600 0008AD06
	global_atomic_add_f32 v6, v177, s[8:9] offset:1792         // 0000000112F0: DD348700 0008B106
	s_mov_b64 exec, s[36:37]                                   // 0000000112F8: BEFE0124
	ds_write_b64 v20, v[118:119]                               // 0000000112FC: D89A0000 00007614
	ds_write_b64 v20, v[122:123] offset:17408                  // 000000011304: D89A4400 00007A14
	ds_write_b64 v20, v[126:127] offset:2176                   // 00000001130C: D89A0880 00007E14
	ds_write_b64 v20, v[130:131] offset:19584                  // 000000011314: D89A4C80 00008214
	ds_write_b64 v20, v[134:135] offset:4352                   // 00000001131C: D89A1100 00008614
	ds_write_b64 v20, v[138:139] offset:21760                  // 000000011324: D89A5500 00008A14
	ds_write_b64 v20, v[142:143] offset:6528                   // 00000001132C: D89A1980 00008E14
	ds_write_b64 v20, v[146:147] offset:23936                  // 000000011334: D89A5D80 00009214
	ds_write_b64 v20, v[150:151] offset:8704                   // 00000001133C: D89A2200 00009614
	ds_write_b64 v20, v[154:155] offset:26112                  // 000000011344: D89A6600 00009A14
	ds_write_b64 v20, v[158:159] offset:10880                  // 00000001134C: D89A2A80 00009E14
	ds_write_b64 v20, v[162:163] offset:28288                  // 000000011354: D89A6E80 0000A214
	ds_write_b64 v20, v[166:167] offset:13056                  // 00000001135C: D89A3300 0000A614
	ds_write_b64 v20, v[170:171] offset:30464                  // 000000011364: D89A7700 0000AA14
	ds_write_b64 v20, v[174:175] offset:15232                  // 00000001136C: D89A3B80 0000AE14
	ds_write_b64 v20, v[178:179] offset:32640                  // 000000011374: D89A7F80 0000B214
	s_waitcnt lgkmcnt(0)                                       // 00000001137C: BF8CC07F
	s_barrier                                                  // 000000011380: BF8A0000
	ds_read_b32 v118, v21                                      // 000000011384: D86C0000 76000015
	ds_read_b32 v119, v21 offset:64                            // 00000001138C: D86C0040 77000015
	ds_read_b32 v122, v21 offset:2176                          // 000000011394: D86C0880 7A000015
	ds_read_b32 v123, v21 offset:2240                          // 00000001139C: D86C08C0 7B000015
	ds_read_b32 v126, v21 offset:4352                          // 0000000113A4: D86C1100 7E000015
	ds_read_b32 v127, v21 offset:4416                          // 0000000113AC: D86C1140 7F000015
	ds_read_b32 v130, v21 offset:6528                          // 0000000113B4: D86C1980 82000015
	ds_read_b32 v131, v21 offset:6592                          // 0000000113BC: D86C19C0 83000015
	ds_read_b32 v134, v21 offset:8704                          // 0000000113C4: D86C2200 86000015
	ds_read_b32 v135, v21 offset:8768                          // 0000000113CC: D86C2240 87000015
	ds_read_b32 v138, v21 offset:10880                         // 0000000113D4: D86C2A80 8A000015
	ds_read_b32 v139, v21 offset:10944                         // 0000000113DC: D86C2AC0 8B000015
	ds_read_b32 v142, v21 offset:13056                         // 0000000113E4: D86C3300 8E000015
	ds_read_b32 v143, v21 offset:13120                         // 0000000113EC: D86C3340 8F000015
	ds_read_b32 v146, v21 offset:15232                         // 0000000113F4: D86C3B80 92000015
	ds_read_b32 v147, v21 offset:15296                         // 0000000113FC: D86C3BC0 93000015
	ds_read_b32 v150, v21 offset:17408                         // 000000011404: D86C4400 96000015
	ds_read_b32 v151, v21 offset:17472                         // 00000001140C: D86C4440 97000015
	ds_read_b32 v154, v21 offset:19584                         // 000000011414: D86C4C80 9A000015
	ds_read_b32 v155, v21 offset:19648                         // 00000001141C: D86C4CC0 9B000015
	ds_read_b32 v158, v21 offset:21760                         // 000000011424: D86C5500 9E000015
	ds_read_b32 v159, v21 offset:21824                         // 00000001142C: D86C5540 9F000015
	ds_read_b32 v162, v21 offset:23936                         // 000000011434: D86C5D80 A2000015
	ds_read_b32 v163, v21 offset:24000                         // 00000001143C: D86C5DC0 A3000015
	ds_read_b32 v166, v21 offset:26112                         // 000000011444: D86C6600 A6000015
	ds_read_b32 v167, v21 offset:26176                         // 00000001144C: D86C6640 A7000015
	ds_read_b32 v170, v21 offset:28288                         // 000000011454: D86C6E80 AA000015
	ds_read_b32 v171, v21 offset:28352                         // 00000001145C: D86C6EC0 AB000015
	ds_read_b32 v174, v21 offset:30464                         // 000000011464: D86C7700 AE000015
	ds_read_b32 v175, v21 offset:30528                         // 00000001146C: D86C7740 AF000015
	ds_read_b32 v178, v21 offset:32640                         // 000000011474: D86C7F80 B2000015
	ds_read_b32 v179, v21 offset:32704                         // 00000001147C: D86C7FC0 B3000015
	s_waitcnt lgkmcnt(0)                                       // 000000011484: BF8CC07F
	v_mov_b32_e32 v7, 0                                        // 000000011488: 7E0E0280
	s_mov_b64 exec, s[36:37]                                   // 00000001148C: BEFE0124
	v_mov_b32_e32 v6, v38                                      // 000000011490: 7E0C0326
	s_mov_b64 s[60:61], 0                                      // 000000011494: BEBC0180
	v_readlane_b32 s82, v3, 0                                  // 000000011498: D2890052 00010103
	s_and_b32 s82, s82, 0xffffff                               // 0000000114A0: 8652FF52 00FFFFFF
	s_cmp_lt_u32 s82, s66                                      // 0000000114A8: BF0A4252
	s_cselect_b32 s20, s36, s60                                // 0000000114AC: 85143C24
	v_readlane_b32 s82, v3, 1                                  // 0000000114B0: D2890052 00010303
	s_and_b32 s82, s82, 0xffffff                               // 0000000114B8: 8652FF52 00FFFFFF
	s_cmp_lt_u32 s82, s66                                      // 0000000114C0: BF0A4252
	s_cselect_b32 s21, s36, s60                                // 0000000114C4: 85153C24
	s_mov_b64 exec, s[20:21]                                   // 0000000114C8: BEFE0114
	global_atomic_add_f32 v6, v118, s[8:9] offset:8            // 0000000114CC: DD348008 00087606
	global_atomic_add_f32 v6, v122, s[8:9] offset:264          // 0000000114D4: DD348108 00087A06
	global_atomic_add_f32 v6, v126, s[8:9] offset:520          // 0000000114DC: DD348208 00087E06
	global_atomic_add_f32 v6, v130, s[8:9] offset:776          // 0000000114E4: DD348308 00088206
	global_atomic_add_f32 v6, v134, s[8:9] offset:1032         // 0000000114EC: DD348408 00088606
	global_atomic_add_f32 v6, v138, s[8:9] offset:1288         // 0000000114F4: DD348508 00088A06
	global_atomic_add_f32 v6, v142, s[8:9] offset:1544         // 0000000114FC: DD348608 00088E06
	global_atomic_add_f32 v6, v146, s[8:9] offset:1800         // 000000011504: DD348708 00089206
	s_mov_b64 exec, s[36:37]                                   // 00000001150C: BEFE0124
	v_mov_b32_e32 v6, v39                                      // 000000011510: 7E0C0327
	s_mov_b64 s[60:61], 0                                      // 000000011514: BEBC0180
	v_readlane_b32 s82, v3, 2                                  // 000000011518: D2890052 00010503
	s_and_b32 s82, s82, 0xffffff                               // 000000011520: 8652FF52 00FFFFFF
	s_cmp_lt_u32 s82, s66                                      // 000000011528: BF0A4252
	s_cselect_b32 s20, s36, s60                                // 00000001152C: 85143C24
	v_readlane_b32 s82, v3, 3                                  // 000000011530: D2890052 00010703
	s_and_b32 s82, s82, 0xffffff                               // 000000011538: 8652FF52 00FFFFFF
	s_cmp_lt_u32 s82, s66                                      // 000000011540: BF0A4252
	s_cselect_b32 s21, s36, s60                                // 000000011544: 85153C24
	s_mov_b64 exec, s[20:21]                                   // 000000011548: BEFE0114
	global_atomic_add_f32 v6, v119, s[8:9] offset:8            // 00000001154C: DD348008 00087706
	global_atomic_add_f32 v6, v123, s[8:9] offset:264          // 000000011554: DD348108 00087B06
	global_atomic_add_f32 v6, v127, s[8:9] offset:520          // 00000001155C: DD348208 00087F06
	global_atomic_add_f32 v6, v131, s[8:9] offset:776          // 000000011564: DD348308 00088306
	global_atomic_add_f32 v6, v135, s[8:9] offset:1032         // 00000001156C: DD348408 00088706
	global_atomic_add_f32 v6, v139, s[8:9] offset:1288         // 000000011574: DD348508 00088B06
	global_atomic_add_f32 v6, v143, s[8:9] offset:1544         // 00000001157C: DD348608 00088F06
	global_atomic_add_f32 v6, v147, s[8:9] offset:1800         // 000000011584: DD348708 00089306
	s_mov_b64 exec, s[36:37]                                   // 00000001158C: BEFE0124
	v_mov_b32_e32 v6, v40                                      // 000000011590: 7E0C0328
	s_mov_b64 s[60:61], 0                                      // 000000011594: BEBC0180
	v_readlane_b32 s82, v3, 4                                  // 000000011598: D2890052 00010903
	s_and_b32 s82, s82, 0xffffff                               // 0000000115A0: 8652FF52 00FFFFFF
	s_cmp_lt_u32 s82, s66                                      // 0000000115A8: BF0A4252
	s_cselect_b32 s20, s36, s60                                // 0000000115AC: 85143C24
	v_readlane_b32 s82, v3, 5                                  // 0000000115B0: D2890052 00010B03
	s_and_b32 s82, s82, 0xffffff                               // 0000000115B8: 8652FF52 00FFFFFF
	s_cmp_lt_u32 s82, s66                                      // 0000000115C0: BF0A4252
	s_cselect_b32 s21, s36, s60                                // 0000000115C4: 85153C24
	s_mov_b64 exec, s[20:21]                                   // 0000000115C8: BEFE0114
	global_atomic_add_f32 v6, v150, s[8:9] offset:8            // 0000000115CC: DD348008 00089606
	global_atomic_add_f32 v6, v154, s[8:9] offset:264          // 0000000115D4: DD348108 00089A06
	global_atomic_add_f32 v6, v158, s[8:9] offset:520          // 0000000115DC: DD348208 00089E06
	global_atomic_add_f32 v6, v162, s[8:9] offset:776          // 0000000115E4: DD348308 0008A206
	global_atomic_add_f32 v6, v166, s[8:9] offset:1032         // 0000000115EC: DD348408 0008A606
	global_atomic_add_f32 v6, v170, s[8:9] offset:1288         // 0000000115F4: DD348508 0008AA06
	global_atomic_add_f32 v6, v174, s[8:9] offset:1544         // 0000000115FC: DD348608 0008AE06
	global_atomic_add_f32 v6, v178, s[8:9] offset:1800         // 000000011604: DD348708 0008B206
	s_mov_b64 exec, s[36:37]                                   // 00000001160C: BEFE0124
	v_mov_b32_e32 v6, v41                                      // 000000011610: 7E0C0329
	s_mov_b64 s[60:61], 0                                      // 000000011614: BEBC0180
	v_readlane_b32 s82, v3, 6                                  // 000000011618: D2890052 00010D03
	s_and_b32 s82, s82, 0xffffff                               // 000000011620: 8652FF52 00FFFFFF
	s_cmp_lt_u32 s82, s66                                      // 000000011628: BF0A4252
	s_cselect_b32 s20, s36, s60                                // 00000001162C: 85143C24
	v_readlane_b32 s82, v3, 7                                  // 000000011630: D2890052 00010F03
	s_and_b32 s82, s82, 0xffffff                               // 000000011638: 8652FF52 00FFFFFF
	s_cmp_lt_u32 s82, s66                                      // 000000011640: BF0A4252
	s_cselect_b32 s21, s36, s60                                // 000000011644: 85153C24
	s_mov_b64 exec, s[20:21]                                   // 000000011648: BEFE0114
	global_atomic_add_f32 v6, v151, s[8:9] offset:8            // 00000001164C: DD348008 00089706
	global_atomic_add_f32 v6, v155, s[8:9] offset:264          // 000000011654: DD348108 00089B06
	global_atomic_add_f32 v6, v159, s[8:9] offset:520          // 00000001165C: DD348208 00089F06
	global_atomic_add_f32 v6, v163, s[8:9] offset:776          // 000000011664: DD348308 0008A306
	global_atomic_add_f32 v6, v167, s[8:9] offset:1032         // 00000001166C: DD348408 0008A706
	global_atomic_add_f32 v6, v171, s[8:9] offset:1288         // 000000011674: DD348508 0008AB06
	global_atomic_add_f32 v6, v175, s[8:9] offset:1544         // 00000001167C: DD348608 0008AF06
	global_atomic_add_f32 v6, v179, s[8:9] offset:1800         // 000000011684: DD348708 0008B306
	s_mov_b64 exec, s[36:37]                                   // 00000001168C: BEFE0124
	s_branch label_3B28                                        // 000000011690: BF820000

0000000000011694 <label_3B28>:
	s_waitcnt vmcnt(0) expcnt(0) lgkmcnt(0)                    // 000000011694: BF8C0000
	s_endpgm                                                   // 000000011698: BF810000
